;; amdgpu-corpus repo=ROCm/rocFFT kind=compiled arch=gfx906 opt=O3
	.text
	.amdgcn_target "amdgcn-amd-amdhsa--gfx906"
	.amdhsa_code_object_version 6
	.protected	fft_rtc_fwd_len1078_factors_2_11_7_7_wgs_231_tpt_77_halfLds_sp_ip_CI_sbrr_dirReg ; -- Begin function fft_rtc_fwd_len1078_factors_2_11_7_7_wgs_231_tpt_77_halfLds_sp_ip_CI_sbrr_dirReg
	.globl	fft_rtc_fwd_len1078_factors_2_11_7_7_wgs_231_tpt_77_halfLds_sp_ip_CI_sbrr_dirReg
	.p2align	8
	.type	fft_rtc_fwd_len1078_factors_2_11_7_7_wgs_231_tpt_77_halfLds_sp_ip_CI_sbrr_dirReg,@function
fft_rtc_fwd_len1078_factors_2_11_7_7_wgs_231_tpt_77_halfLds_sp_ip_CI_sbrr_dirReg: ; @fft_rtc_fwd_len1078_factors_2_11_7_7_wgs_231_tpt_77_halfLds_sp_ip_CI_sbrr_dirReg
; %bb.0:
	s_load_dwordx2 s[14:15], s[4:5], 0x18
	s_load_dwordx4 s[8:11], s[4:5], 0x0
	s_load_dwordx2 s[12:13], s[4:5], 0x50
	v_mul_u32_u24_e32 v1, 0x354, v0
	v_lshrrev_b32_e32 v1, 16, v1
	s_waitcnt lgkmcnt(0)
	s_load_dwordx2 s[2:3], s[14:15], 0x0
	v_mad_u64_u32 v[2:3], s[0:1], s6, 3, v[1:2]
	v_mov_b32_e32 v6, 0
	v_cmp_lt_u64_e64 s[0:1], s[10:11], 2
	v_mov_b32_e32 v3, v6
	v_mov_b32_e32 v4, 0
	;; [unrolled: 1-line block ×3, first 2 shown]
	s_and_b64 vcc, exec, s[0:1]
	v_mov_b32_e32 v5, 0
	v_mov_b32_e32 v10, v2
	s_cbranch_vccnz .LBB0_8
; %bb.1:
	s_load_dwordx2 s[0:1], s[4:5], 0x10
	s_add_u32 s6, s14, 8
	s_addc_u32 s7, s15, 0
	v_mov_b32_e32 v4, 0
	v_mov_b32_e32 v9, v3
	s_waitcnt lgkmcnt(0)
	s_add_u32 s18, s0, 8
	s_mov_b64 s[16:17], 1
	v_mov_b32_e32 v5, 0
	s_addc_u32 s19, s1, 0
	v_mov_b32_e32 v8, v2
.LBB0_2:                                ; =>This Inner Loop Header: Depth=1
	s_load_dwordx2 s[20:21], s[18:19], 0x0
                                        ; implicit-def: $vgpr10_vgpr11
	s_waitcnt lgkmcnt(0)
	v_or_b32_e32 v7, s21, v9
	v_cmp_ne_u64_e32 vcc, 0, v[6:7]
	s_and_saveexec_b64 s[0:1], vcc
	s_xor_b64 s[22:23], exec, s[0:1]
	s_cbranch_execz .LBB0_4
; %bb.3:                                ;   in Loop: Header=BB0_2 Depth=1
	v_cvt_f32_u32_e32 v1, s20
	v_cvt_f32_u32_e32 v3, s21
	s_sub_u32 s0, 0, s20
	s_subb_u32 s1, 0, s21
	v_mac_f32_e32 v1, 0x4f800000, v3
	v_rcp_f32_e32 v1, v1
	v_mul_f32_e32 v1, 0x5f7ffffc, v1
	v_mul_f32_e32 v3, 0x2f800000, v1
	v_trunc_f32_e32 v3, v3
	v_mac_f32_e32 v1, 0xcf800000, v3
	v_cvt_u32_f32_e32 v3, v3
	v_cvt_u32_f32_e32 v1, v1
	v_mul_lo_u32 v7, s0, v3
	v_mul_hi_u32 v10, s0, v1
	v_mul_lo_u32 v12, s1, v1
	v_mul_lo_u32 v11, s0, v1
	v_add_u32_e32 v7, v10, v7
	v_add_u32_e32 v7, v7, v12
	v_mul_hi_u32 v10, v1, v11
	v_mul_lo_u32 v12, v1, v7
	v_mul_hi_u32 v14, v1, v7
	v_mul_hi_u32 v13, v3, v11
	v_mul_lo_u32 v11, v3, v11
	v_mul_hi_u32 v15, v3, v7
	v_add_co_u32_e32 v10, vcc, v10, v12
	v_addc_co_u32_e32 v12, vcc, 0, v14, vcc
	v_mul_lo_u32 v7, v3, v7
	v_add_co_u32_e32 v10, vcc, v10, v11
	v_addc_co_u32_e32 v10, vcc, v12, v13, vcc
	v_addc_co_u32_e32 v11, vcc, 0, v15, vcc
	v_add_co_u32_e32 v7, vcc, v10, v7
	v_addc_co_u32_e32 v10, vcc, 0, v11, vcc
	v_add_co_u32_e32 v1, vcc, v1, v7
	v_addc_co_u32_e32 v3, vcc, v3, v10, vcc
	v_mul_lo_u32 v7, s0, v3
	v_mul_hi_u32 v10, s0, v1
	v_mul_lo_u32 v11, s1, v1
	v_mul_lo_u32 v12, s0, v1
	v_add_u32_e32 v7, v10, v7
	v_add_u32_e32 v7, v7, v11
	v_mul_lo_u32 v13, v1, v7
	v_mul_hi_u32 v14, v1, v12
	v_mul_hi_u32 v15, v1, v7
	;; [unrolled: 1-line block ×3, first 2 shown]
	v_mul_lo_u32 v12, v3, v12
	v_mul_hi_u32 v10, v3, v7
	v_add_co_u32_e32 v13, vcc, v14, v13
	v_addc_co_u32_e32 v14, vcc, 0, v15, vcc
	v_mul_lo_u32 v7, v3, v7
	v_add_co_u32_e32 v12, vcc, v13, v12
	v_addc_co_u32_e32 v11, vcc, v14, v11, vcc
	v_addc_co_u32_e32 v10, vcc, 0, v10, vcc
	v_add_co_u32_e32 v7, vcc, v11, v7
	v_addc_co_u32_e32 v10, vcc, 0, v10, vcc
	v_add_co_u32_e32 v1, vcc, v1, v7
	v_addc_co_u32_e32 v3, vcc, v3, v10, vcc
	v_mad_u64_u32 v[10:11], s[0:1], v8, v3, 0
	v_mul_hi_u32 v7, v8, v1
	v_mad_u64_u32 v[12:13], s[0:1], v9, v3, 0
	v_add_co_u32_e32 v7, vcc, v7, v10
	v_addc_co_u32_e32 v14, vcc, 0, v11, vcc
	v_mad_u64_u32 v[10:11], s[0:1], v9, v1, 0
	v_add_co_u32_e32 v1, vcc, v7, v10
	v_addc_co_u32_e32 v1, vcc, v14, v11, vcc
	v_addc_co_u32_e32 v3, vcc, 0, v13, vcc
	v_add_co_u32_e32 v1, vcc, v1, v12
	v_addc_co_u32_e32 v3, vcc, 0, v3, vcc
	v_mul_lo_u32 v7, s21, v1
	v_mul_lo_u32 v12, s20, v3
	v_mad_u64_u32 v[10:11], s[0:1], s20, v1, 0
	v_add3_u32 v7, v11, v12, v7
	v_sub_u32_e32 v11, v9, v7
	v_mov_b32_e32 v12, s21
	v_sub_co_u32_e32 v10, vcc, v8, v10
	v_subb_co_u32_e64 v11, s[0:1], v11, v12, vcc
	v_subrev_co_u32_e64 v12, s[0:1], s20, v10
	v_subbrev_co_u32_e64 v11, s[0:1], 0, v11, s[0:1]
	v_cmp_le_u32_e64 s[0:1], s21, v11
	v_cndmask_b32_e64 v13, 0, -1, s[0:1]
	v_cmp_le_u32_e64 s[0:1], s20, v12
	v_cndmask_b32_e64 v12, 0, -1, s[0:1]
	v_cmp_eq_u32_e64 s[0:1], s21, v11
	v_cndmask_b32_e64 v11, v13, v12, s[0:1]
	v_add_co_u32_e64 v12, s[0:1], 2, v1
	v_addc_co_u32_e64 v13, s[0:1], 0, v3, s[0:1]
	v_add_co_u32_e64 v14, s[0:1], 1, v1
	v_addc_co_u32_e64 v15, s[0:1], 0, v3, s[0:1]
	v_subb_co_u32_e32 v7, vcc, v9, v7, vcc
	v_cmp_ne_u32_e64 s[0:1], 0, v11
	v_cmp_le_u32_e32 vcc, s21, v7
	v_cndmask_b32_e64 v11, v15, v13, s[0:1]
	v_cndmask_b32_e64 v13, 0, -1, vcc
	v_cmp_le_u32_e32 vcc, s20, v10
	v_cndmask_b32_e64 v10, 0, -1, vcc
	v_cmp_eq_u32_e32 vcc, s21, v7
	v_cndmask_b32_e32 v7, v13, v10, vcc
	v_cmp_ne_u32_e32 vcc, 0, v7
	v_cndmask_b32_e32 v11, v3, v11, vcc
	v_cndmask_b32_e64 v3, v14, v12, s[0:1]
	v_cndmask_b32_e32 v10, v1, v3, vcc
.LBB0_4:                                ;   in Loop: Header=BB0_2 Depth=1
	s_andn2_saveexec_b64 s[0:1], s[22:23]
	s_cbranch_execz .LBB0_6
; %bb.5:                                ;   in Loop: Header=BB0_2 Depth=1
	v_cvt_f32_u32_e32 v1, s20
	s_sub_i32 s22, 0, s20
	v_mov_b32_e32 v11, v6
	v_rcp_iflag_f32_e32 v1, v1
	v_mul_f32_e32 v1, 0x4f7ffffe, v1
	v_cvt_u32_f32_e32 v1, v1
	v_mul_lo_u32 v3, s22, v1
	v_mul_hi_u32 v3, v1, v3
	v_add_u32_e32 v1, v1, v3
	v_mul_hi_u32 v1, v8, v1
	v_mul_lo_u32 v3, v1, s20
	v_add_u32_e32 v7, 1, v1
	v_sub_u32_e32 v3, v8, v3
	v_subrev_u32_e32 v10, s20, v3
	v_cmp_le_u32_e32 vcc, s20, v3
	v_cndmask_b32_e32 v3, v3, v10, vcc
	v_cndmask_b32_e32 v1, v1, v7, vcc
	v_add_u32_e32 v7, 1, v1
	v_cmp_le_u32_e32 vcc, s20, v3
	v_cndmask_b32_e32 v10, v1, v7, vcc
.LBB0_6:                                ;   in Loop: Header=BB0_2 Depth=1
	s_or_b64 exec, exec, s[0:1]
	v_mul_lo_u32 v1, v11, s20
	v_mul_lo_u32 v3, v10, s21
	v_mad_u64_u32 v[12:13], s[0:1], v10, s20, 0
	s_load_dwordx2 s[0:1], s[6:7], 0x0
	s_add_u32 s16, s16, 1
	v_add3_u32 v1, v13, v3, v1
	v_sub_co_u32_e32 v3, vcc, v8, v12
	v_subb_co_u32_e32 v1, vcc, v9, v1, vcc
	s_waitcnt lgkmcnt(0)
	v_mul_lo_u32 v1, s0, v1
	v_mul_lo_u32 v7, s1, v3
	v_mad_u64_u32 v[4:5], s[0:1], s0, v3, v[4:5]
	s_addc_u32 s17, s17, 0
	s_add_u32 s6, s6, 8
	v_add3_u32 v5, v7, v5, v1
	v_mov_b32_e32 v7, s10
	v_mov_b32_e32 v8, s11
	s_addc_u32 s7, s7, 0
	v_cmp_ge_u64_e32 vcc, s[16:17], v[7:8]
	s_add_u32 s18, s18, 8
	s_addc_u32 s19, s19, 0
	s_cbranch_vccnz .LBB0_8
; %bb.7:                                ;   in Loop: Header=BB0_2 Depth=1
	v_mov_b32_e32 v8, v10
	v_mov_b32_e32 v9, v11
	s_branch .LBB0_2
.LBB0_8:
	s_lshl_b64 s[0:1], s[10:11], 3
	s_add_u32 s0, s14, s0
	s_addc_u32 s1, s15, s1
	s_load_dwordx2 s[6:7], s[0:1], 0x0
	s_load_dwordx2 s[10:11], s[4:5], 0x20
                                        ; implicit-def: $vgpr52
                                        ; implicit-def: $vgpr54
                                        ; implicit-def: $vgpr55
                                        ; implicit-def: $vgpr56
	s_waitcnt lgkmcnt(0)
	v_mad_u64_u32 v[3:4], s[0:1], s6, v10, v[4:5]
	s_mov_b32 s0, 0x3531ded
	v_mul_lo_u32 v1, s6, v11
	v_mul_lo_u32 v6, s7, v10
	v_mul_hi_u32 v5, v0, s0
	v_cmp_gt_u64_e32 vcc, s[10:11], v[10:11]
	v_cmp_le_u64_e64 s[0:1], s[10:11], v[10:11]
	v_add3_u32 v4, v6, v4, v1
	v_mul_u32_u24_e32 v1, 0x4d, v5
	v_sub_u32_e32 v51, v0, v1
                                        ; implicit-def: $sgpr6_sgpr7
	s_and_saveexec_b64 s[4:5], s[0:1]
	s_xor_b64 s[0:1], exec, s[4:5]
; %bb.9:
	v_add_u32_e32 v52, 0x4d, v51
	v_add_u32_e32 v54, 0x9a, v51
	;; [unrolled: 1-line block ×4, first 2 shown]
	s_mov_b64 s[6:7], 0
; %bb.10:
	s_or_saveexec_b64 s[4:5], s[0:1]
	v_mov_b32_e32 v11, s7
	v_lshlrev_b64 v[0:1], 3, v[3:4]
	v_mov_b32_e32 v33, s7
	v_mov_b32_e32 v37, s7
	;; [unrolled: 1-line block ×13, first 2 shown]
                                        ; implicit-def: $vgpr15
                                        ; implicit-def: $vgpr21
                                        ; implicit-def: $vgpr25
                                        ; implicit-def: $vgpr27
                                        ; implicit-def: $vgpr29
                                        ; implicit-def: $vgpr31
                                        ; implicit-def: $vgpr35
	s_xor_b64 exec, exec, s[4:5]
	s_cbranch_execz .LBB0_12
; %bb.11:
	v_mad_u64_u32 v[3:4], s[0:1], s2, v51, 0
	v_add_u32_e32 v8, 0x21b, v51
	v_mov_b32_e32 v7, s13
	v_mad_u64_u32 v[4:5], s[0:1], s3, v51, v[4:5]
	v_mad_u64_u32 v[5:6], s[0:1], s2, v8, 0
	v_add_co_u32_e64 v20, s[0:1], s12, v0
	v_addc_co_u32_e64 v21, s[0:1], v7, v1, s[0:1]
	v_mad_u64_u32 v[6:7], s[0:1], s3, v8, v[6:7]
	v_add_u32_e32 v52, 0x4d, v51
	v_mad_u64_u32 v[7:8], s[0:1], s2, v52, 0
	v_lshlrev_b64 v[3:4], 3, v[3:4]
	v_add_u32_e32 v11, 0x268, v51
	v_add_co_u32_e64 v3, s[0:1], v20, v3
	v_addc_co_u32_e64 v4, s[0:1], v21, v4, s[0:1]
	v_mad_u64_u32 v[8:9], s[0:1], s3, v52, v[8:9]
	v_mad_u64_u32 v[9:10], s[0:1], s2, v11, 0
	v_lshlrev_b64 v[5:6], 3, v[5:6]
	v_add_u32_e32 v54, 0x9a, v51
	v_add_co_u32_e64 v5, s[0:1], v20, v5
	v_addc_co_u32_e64 v6, s[0:1], v21, v6, s[0:1]
	v_mad_u64_u32 v[10:11], s[0:1], s3, v11, v[10:11]
	;; [unrolled: 6-line block ×3, first 2 shown]
	v_mad_u64_u32 v[13:14], s[0:1], s2, v15, 0
	v_lshlrev_b64 v[9:10], 3, v[9:10]
	v_add_u32_e32 v55, 0x134, v51
	v_add_co_u32_e64 v16, s[0:1], v20, v9
	v_addc_co_u32_e64 v17, s[0:1], v21, v10, s[0:1]
	v_lshlrev_b64 v[9:10], 3, v[11:12]
	v_mov_b32_e32 v11, v14
	v_mad_u64_u32 v[11:12], s[0:1], s3, v15, v[11:12]
	v_add_u32_e32 v12, 0xe7, v51
	v_mad_u64_u32 v[18:19], s[0:1], s2, v12, 0
	v_add_co_u32_e64 v22, s[0:1], v20, v9
	v_mov_b32_e32 v14, v11
	v_mov_b32_e32 v11, v19
	v_addc_co_u32_e64 v23, s[0:1], v21, v10, s[0:1]
	v_lshlrev_b64 v[9:10], 3, v[13:14]
	v_mad_u64_u32 v[11:12], s[0:1], s3, v12, v[11:12]
	v_add_u32_e32 v14, 0x302, v51
	v_mad_u64_u32 v[12:13], s[0:1], s2, v14, 0
	v_add_co_u32_e64 v47, s[0:1], v20, v9
	v_mov_b32_e32 v19, v11
	v_mov_b32_e32 v11, v13
	v_addc_co_u32_e64 v48, s[0:1], v21, v10, s[0:1]
	v_mad_u64_u32 v[13:14], s[0:1], s3, v14, v[11:12]
	v_mad_u64_u32 v[14:15], s[0:1], s2, v55, 0
	v_lshlrev_b64 v[9:10], 3, v[18:19]
	v_add_u32_e32 v24, 0x34f, v51
	v_add_co_u32_e64 v18, s[0:1], v20, v9
	v_mov_b32_e32 v11, v15
	v_addc_co_u32_e64 v19, s[0:1], v21, v10, s[0:1]
	v_lshlrev_b64 v[9:10], 3, v[12:13]
	v_mad_u64_u32 v[11:12], s[0:1], s3, v55, v[11:12]
	v_mad_u64_u32 v[12:13], s[0:1], s2, v24, 0
	v_add_co_u32_e64 v49, s[0:1], v20, v9
	v_mov_b32_e32 v15, v11
	v_mov_b32_e32 v11, v13
	v_addc_co_u32_e64 v50, s[0:1], v21, v10, s[0:1]
	v_lshlrev_b64 v[9:10], 3, v[14:15]
	v_mad_u64_u32 v[13:14], s[0:1], s3, v24, v[11:12]
	v_add_u32_e32 v24, 0x181, v51
	v_mad_u64_u32 v[14:15], s[0:1], s2, v24, 0
	v_add_co_u32_e64 v57, s[0:1], v20, v9
	v_mov_b32_e32 v11, v15
	v_addc_co_u32_e64 v58, s[0:1], v21, v10, s[0:1]
	v_lshlrev_b64 v[9:10], 3, v[12:13]
	v_mad_u64_u32 v[11:12], s[0:1], s3, v24, v[11:12]
	v_add_u32_e32 v24, 0x39c, v51
	v_mad_u64_u32 v[12:13], s[0:1], s2, v24, 0
	v_add_co_u32_e64 v59, s[0:1], v20, v9
	v_mov_b32_e32 v15, v11
	v_mov_b32_e32 v11, v13
	v_addc_co_u32_e64 v60, s[0:1], v21, v10, s[0:1]
	v_lshlrev_b64 v[9:10], 3, v[14:15]
	v_mad_u64_u32 v[13:14], s[0:1], s3, v24, v[11:12]
	v_add_u32_e32 v56, 0x1ce, v51
	v_mad_u64_u32 v[14:15], s[0:1], s2, v56, 0
	v_add_co_u32_e64 v61, s[0:1], v20, v9
	v_mov_b32_e32 v11, v15
	v_addc_co_u32_e64 v62, s[0:1], v21, v10, s[0:1]
	v_lshlrev_b64 v[9:10], 3, v[12:13]
	v_mad_u64_u32 v[11:12], s[0:1], s3, v56, v[11:12]
	v_add_u32_e32 v24, 0x3e9, v51
	v_mad_u64_u32 v[12:13], s[0:1], s2, v24, 0
	v_add_co_u32_e64 v63, s[0:1], v20, v9
	v_mov_b32_e32 v15, v11
	v_mov_b32_e32 v11, v13
	v_addc_co_u32_e64 v64, s[0:1], v21, v10, s[0:1]
	v_lshlrev_b64 v[9:10], 3, v[14:15]
	v_mad_u64_u32 v[13:14], s[0:1], s3, v24, v[11:12]
	v_add_co_u32_e64 v65, s[0:1], v20, v9
	v_addc_co_u32_e64 v66, s[0:1], v21, v10, s[0:1]
	v_lshlrev_b64 v[9:10], 3, v[12:13]
	v_add_co_u32_e64 v12, s[0:1], v20, v9
	v_addc_co_u32_e64 v13, s[0:1], v21, v10, s[0:1]
	global_load_dwordx2 v[10:11], v[3:4], off
	global_load_dwordx2 v[14:15], v[5:6], off
	;; [unrolled: 1-line block ×14, first 2 shown]
.LBB0_12:
	s_or_b64 exec, exec, s[4:5]
	s_mov_b32 s0, 0xaaaaaaab
	v_mul_hi_u32 v5, v2, s0
	s_waitcnt vmcnt(12)
	v_sub_f32_e32 v4, v10, v14
	s_waitcnt vmcnt(10)
	v_sub_f32_e32 v6, v32, v20
	v_fma_f32 v3, v10, 2.0, -v4
	v_lshrrev_b32_e32 v5, 1, v5
	v_lshl_add_u32 v5, v5, 1, v5
	v_sub_u32_e32 v2, v2, v5
	v_mul_u32_u24_e32 v2, 0x436, v2
	v_lshlrev_b32_e32 v53, 2, v2
	v_add_u32_e32 v2, 0, v53
	v_fma_f32 v5, v32, 2.0, -v6
	v_lshl_add_u32 v12, v51, 3, v2
	v_lshl_add_u32 v16, v52, 3, v2
	s_waitcnt vmcnt(8)
	v_sub_f32_e32 v8, v36, v24
	s_waitcnt vmcnt(6)
	v_sub_f32_e32 v10, v38, v26
	ds_write_b64 v12, v[3:4]
	ds_write_b64 v16, v[5:6]
	s_waitcnt vmcnt(4)
	v_sub_f32_e32 v6, v40, v28
	s_waitcnt vmcnt(2)
	v_sub_f32_e32 v4, v42, v30
	v_fma_f32 v7, v36, 2.0, -v8
	v_fma_f32 v9, v38, 2.0, -v10
	;; [unrolled: 1-line block ×3, first 2 shown]
	v_lshl_add_u32 v22, v54, 3, v2
	v_fma_f32 v3, v42, 2.0, -v4
	v_lshl_add_u32 v28, v55, 3, v2
	ds_write_b64 v22, v[7:8]
	ds_write_b64 v12, v[9:10] offset:1848
	ds_write_b64 v28, v[5:6]
	s_waitcnt vmcnt(0)
	v_sub_f32_e32 v14, v45, v34
	ds_write_b64 v12, v[3:4] offset:3080
	v_lshlrev_b32_e32 v3, 2, v51
	v_fma_f32 v13, v45, 2.0, -v14
	v_lshl_add_u32 v30, v56, 3, v2
	v_add_u32_e32 v40, v2, v3
	v_add3_u32 v42, 0, v3, v53
	ds_write_b64 v30, v[13:14]
	s_waitcnt lgkmcnt(0)
	s_barrier
	ds_read_b32 v64, v40
	v_add_u32_e32 v32, 0x400, v42
	v_add_u32_e32 v34, 0x600, v42
	;; [unrolled: 1-line block ×4, first 2 shown]
	ds_read2_b32 v[49:50], v42 offset0:98 offset1:196
	ds_read2_b32 v[47:48], v32 offset0:38 offset1:136
	;; [unrolled: 1-line block ×5, first 2 shown]
	v_cmp_gt_u32_e64 s[0:1], 21, v51
	v_lshlrev_b32_e32 v57, 2, v52
                                        ; implicit-def: $vgpr17
                                        ; implicit-def: $vgpr9
                                        ; implicit-def: $vgpr6
                                        ; implicit-def: $vgpr8
	s_and_saveexec_b64 s[4:5], s[0:1]
	s_cbranch_execz .LBB0_14
; %bb.13:
	v_add3_u32 v2, 0, v57, v53
	ds_read_b32 v4, v2
	v_add_u32_e32 v2, 0x200, v42
	ds_read2_b32 v[13:14], v2 offset0:47 offset1:145
	ds_read2_b32 v[17:18], v32 offset0:115 offset1:213
	v_add_u32_e32 v2, 0x800, v42
	ds_read2_b32 v[9:10], v2 offset0:55 offset1:153
	ds_read2_b32 v[7:8], v58 offset0:123 offset1:221
	v_add_u32_e32 v2, 0xe00, v42
	ds_read2_b32 v[5:6], v2 offset0:63 offset1:161
.LBB0_14:
	s_or_b64 exec, exec, s[4:5]
	v_sub_f32_e32 v61, v11, v15
	v_sub_f32_e32 v38, v37, v25
	v_fma_f32 v60, v11, 2.0, -v61
	v_sub_f32_e32 v63, v33, v21
	v_fma_f32 v37, v37, 2.0, -v38
	v_sub_f32_e32 v66, v39, v27
	v_sub_f32_e32 v68, v41, v29
	;; [unrolled: 1-line block ×4, first 2 shown]
	v_fma_f32 v62, v33, 2.0, -v63
	v_fma_f32 v65, v39, 2.0, -v66
	;; [unrolled: 1-line block ×5, first 2 shown]
	s_waitcnt lgkmcnt(0)
	s_barrier
	ds_write_b64 v12, v[60:61]
	ds_write_b64 v16, v[62:63]
	;; [unrolled: 1-line block ×3, first 2 shown]
	ds_write_b64 v12, v[65:66] offset:1848
	ds_write_b64 v28, v[67:68]
	ds_write_b64 v12, v[2:3] offset:3080
	ds_write_b64 v30, v[25:26]
	s_waitcnt lgkmcnt(0)
	s_barrier
	ds_read_b32 v39, v40
	ds_read2_b32 v[37:38], v42 offset0:98 offset1:196
	ds_read2_b32 v[35:36], v32 offset0:38 offset1:136
	;; [unrolled: 1-line block ×5, first 2 shown]
                                        ; implicit-def: $vgpr27
                                        ; implicit-def: $vgpr21
                                        ; implicit-def: $vgpr12
                                        ; implicit-def: $vgpr16
	s_and_saveexec_b64 s[4:5], s[0:1]
	s_cbranch_execz .LBB0_16
; %bb.15:
	v_add3_u32 v2, 0, v57, v53
	ds_read_b32 v3, v2
	v_add_u32_e32 v2, 0x200, v42
	ds_read2_b32 v[25:26], v2 offset0:47 offset1:145
	v_add_u32_e32 v2, 0x400, v42
	ds_read2_b32 v[27:28], v2 offset0:115 offset1:213
	;; [unrolled: 2-line block ×5, first 2 shown]
.LBB0_16:
	s_or_b64 exec, exec, s[4:5]
	v_and_b32_e32 v63, 1, v51
	v_mul_u32_u24_e32 v2, 10, v63
	v_lshlrev_b32_e32 v61, 3, v2
	global_load_dwordx4 v[65:68], v61, s[8:9]
	global_load_dwordx4 v[69:72], v61, s[8:9] offset:16
	global_load_dwordx4 v[73:76], v61, s[8:9] offset:32
	s_mov_b32 s10, 0x3f575c64
	s_mov_b32 s6, 0x3ed4b147
	;; [unrolled: 1-line block ×5, first 2 shown]
	s_waitcnt vmcnt(2) lgkmcnt(4)
	v_mul_f32_e32 v2, v37, v66
	v_mul_f32_e32 v59, v49, v66
	;; [unrolled: 1-line block ×4, first 2 shown]
	v_fma_f32 v60, v49, v65, -v2
	v_fma_f32 v49, v50, v67, -v41
	v_fmac_f32_e32 v59, v37, v65
	v_fmac_f32_e32 v58, v38, v67
	s_waitcnt vmcnt(1) lgkmcnt(3)
	v_mul_f32_e32 v2, v35, v70
	v_mul_f32_e32 v43, v47, v70
	;; [unrolled: 1-line block ×4, first 2 shown]
	global_load_dwordx4 v[65:68], v61, s[8:9] offset:48
	v_fma_f32 v46, v47, v69, -v2
	v_fma_f32 v41, v48, v71, -v37
	v_fmac_f32_e32 v43, v35, v69
	v_fmac_f32_e32 v38, v36, v71
	global_load_dwordx4 v[69:72], v61, s[8:9] offset:64
	v_and_b32_e32 v2, 1, v52
	v_mul_u32_u24_e32 v47, 10, v2
	s_waitcnt vmcnt(2) lgkmcnt(2)
	v_mul_f32_e32 v36, v33, v74
	v_mul_f32_e32 v35, v44, v74
	;; [unrolled: 1-line block ×4, first 2 shown]
	v_lshlrev_b32_e32 v50, 3, v47
	v_fma_f32 v36, v44, v73, -v36
	v_fmac_f32_e32 v35, v33, v73
	v_fma_f32 v33, v45, v75, -v48
	v_fmac_f32_e32 v37, v34, v75
	global_load_dwordx4 v[73:76], v50, s[8:9] offset:64
	s_waitcnt vmcnt(2) lgkmcnt(1)
	v_mul_f32_e32 v44, v31, v66
	v_mul_f32_e32 v34, v23, v66
	v_mul_f32_e32 v47, v32, v68
	v_mul_f32_e32 v45, v24, v68
	v_fma_f32 v44, v23, v65, -v44
	v_fmac_f32_e32 v34, v31, v65
	v_fma_f32 v47, v24, v67, -v47
	v_fmac_f32_e32 v45, v32, v67
	global_load_dwordx4 v[65:68], v50, s[8:9]
	s_waitcnt vmcnt(2) lgkmcnt(0)
	v_mul_f32_e32 v23, v29, v70
	v_mul_f32_e32 v32, v19, v70
	;; [unrolled: 1-line block ×4, first 2 shown]
	v_fma_f32 v48, v19, v69, -v23
	v_fmac_f32_e32 v32, v29, v69
	v_fma_f32 v62, v20, v71, -v24
	v_fmac_f32_e32 v61, v30, v71
	global_load_dwordx4 v[69:72], v50, s[8:9] offset:16
	s_waitcnt vmcnt(1)
	v_mul_f32_e32 v19, v25, v66
	v_mul_f32_e32 v30, v13, v66
	;; [unrolled: 1-line block ×4, first 2 shown]
	v_fma_f32 v31, v13, v65, -v19
	v_fmac_f32_e32 v30, v25, v65
	v_fma_f32 v29, v14, v67, -v20
	v_fmac_f32_e32 v24, v26, v67
	global_load_dwordx4 v[65:68], v50, s[8:9] offset:32
	s_waitcnt vmcnt(1)
	v_mul_f32_e32 v14, v27, v70
	v_mul_f32_e32 v23, v17, v70
	;; [unrolled: 1-line block ×4, first 2 shown]
	v_fma_f32 v25, v17, v69, -v14
	v_fmac_f32_e32 v23, v27, v69
	v_fma_f32 v14, v18, v71, -v19
	v_fmac_f32_e32 v13, v28, v71
	global_load_dwordx4 v[69:72], v50, s[8:9] offset:48
	v_mul_f32_e32 v27, v5, v74
	v_mul_f32_e32 v50, v6, v76
	v_fmac_f32_e32 v50, v12, v75
	v_fmac_f32_e32 v27, v11, v73
	s_waitcnt vmcnt(0)
	s_barrier
	v_mul_f32_e32 v18, v21, v66
	v_mul_f32_e32 v17, v9, v66
	;; [unrolled: 1-line block ×3, first 2 shown]
	v_fma_f32 v18, v9, v65, -v18
	v_mul_f32_e32 v20, v22, v68
	v_fmac_f32_e32 v17, v21, v65
	v_fmac_f32_e32 v19, v22, v67
	v_fma_f32 v20, v10, v67, -v20
	v_mul_f32_e32 v9, v15, v70
	v_mul_f32_e32 v21, v7, v70
	v_fma_f32 v22, v7, v69, -v9
	v_mul_f32_e32 v26, v8, v72
	v_mul_f32_e32 v7, v11, v74
	;; [unrolled: 1-line block ×3, first 2 shown]
	v_fmac_f32_e32 v26, v16, v71
	v_fma_f32 v16, v5, v73, -v7
	v_mul_f32_e32 v5, v12, v76
	v_sub_f32_e32 v7, v59, v61
	v_fmac_f32_e32 v21, v15, v69
	v_fma_f32 v15, v8, v71, -v10
	v_fma_f32 v28, v6, v75, -v5
	v_add_f32_e32 v6, v60, v62
	v_mul_f32_e32 v8, 0xbf0a6770, v7
	v_mul_f32_e32 v10, 0xbf68dda4, v7
	;; [unrolled: 1-line block ×5, first 2 shown]
	v_fma_f32 v9, v6, s10, -v8
	v_fmac_f32_e32 v8, 0x3f575c64, v6
	v_fma_f32 v11, v6, s6, -v10
	v_fmac_f32_e32 v10, 0x3ed4b147, v6
	;; [unrolled: 2-line block ×5, first 2 shown]
	v_add_f32_e32 v5, v64, v60
	v_add_f32_e32 v9, v64, v9
	;; [unrolled: 1-line block ×11, first 2 shown]
	v_sub_f32_e32 v64, v58, v32
	v_add_f32_e32 v7, v49, v48
	v_mul_f32_e32 v69, 0xbf68dda4, v64
	v_fma_f32 v70, v7, s6, -v69
	v_fmac_f32_e32 v69, 0x3ed4b147, v7
	v_add_f32_e32 v8, v69, v8
	v_mul_f32_e32 v69, 0xbf4178ce, v64
	v_add_f32_e32 v9, v70, v9
	v_fma_f32 v70, v7, s11, -v69
	v_fmac_f32_e32 v69, 0xbf27a4f4, v7
	v_add_f32_e32 v10, v69, v10
	v_mul_f32_e32 v69, 0x3e903f40, v64
	v_add_f32_e32 v11, v70, v11
	v_fma_f32 v70, v7, s14, -v69
	v_fmac_f32_e32 v69, 0xbf75a155, v7
	v_add_f32_e32 v12, v69, v12
	v_mul_f32_e32 v69, 0x3f7d64f0, v64
	v_add_f32_e32 v65, v70, v65
	v_fma_f32 v70, v7, s7, -v69
	v_fmac_f32_e32 v69, 0xbe11bafb, v7
	v_mul_f32_e32 v64, 0x3f0a6770, v64
	v_add_f32_e32 v66, v69, v66
	v_fma_f32 v69, v7, s10, -v64
	v_fmac_f32_e32 v64, 0x3f575c64, v7
	v_add_f32_e32 v6, v64, v6
	v_sub_f32_e32 v64, v43, v45
	v_add_f32_e32 v68, v69, v68
	v_add_f32_e32 v7, v46, v47
	v_mul_f32_e32 v69, 0xbf7d64f0, v64
	v_add_f32_e32 v67, v70, v67
	v_fma_f32 v70, v7, s7, -v69
	v_fmac_f32_e32 v69, 0xbe11bafb, v7
	v_add_f32_e32 v8, v69, v8
	v_mul_f32_e32 v69, 0x3e903f40, v64
	v_add_f32_e32 v9, v70, v9
	v_fma_f32 v70, v7, s14, -v69
	v_fmac_f32_e32 v69, 0xbf75a155, v7
	v_add_f32_e32 v10, v69, v10
	v_mul_f32_e32 v69, 0x3f68dda4, v64
	v_add_f32_e32 v11, v70, v11
	v_fma_f32 v70, v7, s6, -v69
	v_fmac_f32_e32 v69, 0x3ed4b147, v7
	v_add_f32_e32 v12, v69, v12
	v_mul_f32_e32 v69, 0xbf0a6770, v64
	v_add_f32_e32 v65, v70, v65
	v_fma_f32 v70, v7, s10, -v69
	v_fmac_f32_e32 v69, 0x3f575c64, v7
	v_mul_f32_e32 v64, 0xbf4178ce, v64
	v_add_f32_e32 v66, v69, v66
	v_fma_f32 v69, v7, s11, -v64
	v_fmac_f32_e32 v64, 0xbf27a4f4, v7
	v_add_f32_e32 v6, v64, v6
	v_sub_f32_e32 v64, v38, v34
	v_add_f32_e32 v68, v69, v68
	v_add_f32_e32 v7, v41, v44
	v_mul_f32_e32 v69, 0xbf4178ce, v64
	v_add_f32_e32 v67, v70, v67
	;; [unrolled: 27-line block ×3, first 2 shown]
	v_fma_f32 v70, v7, s14, -v69
	v_fmac_f32_e32 v69, 0xbf75a155, v7
	v_add_f32_e32 v8, v69, v8
	v_mul_f32_e32 v69, 0x3f0a6770, v64
	v_add_f32_e32 v9, v70, v9
	v_fma_f32 v70, v7, s10, -v69
	v_fmac_f32_e32 v69, 0x3f575c64, v7
	v_add_f32_e32 v5, v5, v49
	v_add_f32_e32 v10, v69, v10
	v_mul_f32_e32 v69, 0xbf4178ce, v64
	v_add_f32_e32 v5, v5, v46
	v_add_f32_e32 v11, v70, v11
	v_fma_f32 v70, v7, s11, -v69
	v_fmac_f32_e32 v69, 0xbf27a4f4, v7
	v_add_f32_e32 v5, v5, v41
	v_add_f32_e32 v12, v69, v12
	v_mul_f32_e32 v69, 0x3f68dda4, v64
	v_add_f32_e32 v5, v5, v36
	v_add_f32_e32 v65, v70, v65
	v_fma_f32 v70, v7, s6, -v69
	v_fmac_f32_e32 v69, 0x3ed4b147, v7
	v_mul_f32_e32 v64, 0xbf7d64f0, v64
	v_add_f32_e32 v5, v5, v33
	v_add_f32_e32 v66, v69, v66
	v_fma_f32 v69, v7, s7, -v64
	v_fmac_f32_e32 v64, 0xbe11bafb, v7
	v_lshrrev_b32_e32 v7, 1, v51
	v_add_f32_e32 v5, v5, v44
	v_mul_u32_u24_e32 v7, 22, v7
	v_add_f32_e32 v5, v5, v47
	v_or_b32_e32 v7, v7, v63
	v_add_f32_e32 v5, v5, v48
	v_lshlrev_b32_e32 v7, 2, v7
	v_add_f32_e32 v5, v5, v62
	v_add_f32_e32 v6, v64, v6
	v_add3_u32 v64, 0, v7, v53
	v_lshrrev_b32_e32 v63, 1, v52
	v_add_f32_e32 v67, v70, v67
	v_add_f32_e32 v68, v69, v68
	ds_write2_b32 v64, v5, v9 offset1:2
	ds_write2_b32 v64, v11, v65 offset0:4 offset1:6
	ds_write2_b32 v64, v67, v68 offset0:8 offset1:10
	;; [unrolled: 1-line block ×4, first 2 shown]
	ds_write_b32 v64, v8 offset:80
	s_and_saveexec_b64 s[4:5], s[0:1]
	s_cbranch_execz .LBB0_18
; %bb.17:
	v_sub_f32_e32 v6, v30, v50
	v_mul_f32_e32 v7, 0xbe903f40, v6
	v_sub_f32_e32 v10, v24, v27
	v_add_f32_e32 v5, v31, v28
	v_mov_b32_e32 v8, v7
	v_mul_f32_e32 v11, 0x3f0a6770, v10
	v_fmac_f32_e32 v8, 0xbf75a155, v5
	v_add_f32_e32 v9, v29, v16
	v_mov_b32_e32 v12, v11
	v_sub_f32_e32 v65, v23, v26
	v_add_f32_e32 v8, v4, v8
	v_fmac_f32_e32 v12, 0x3f575c64, v9
	v_mul_f32_e32 v66, 0xbf4178ce, v65
	v_add_f32_e32 v8, v12, v8
	v_add_f32_e32 v12, v25, v15
	v_mov_b32_e32 v67, v66
	v_sub_f32_e32 v68, v13, v21
	v_fma_f32 v7, v5, s14, -v7
	v_fmac_f32_e32 v67, 0xbf27a4f4, v12
	v_mul_f32_e32 v69, 0x3f68dda4, v68
	v_add_f32_e32 v7, v4, v7
	v_fma_f32 v11, v9, s10, -v11
	v_add_f32_e32 v8, v67, v8
	v_add_f32_e32 v67, v14, v22
	v_mov_b32_e32 v70, v69
	v_add_f32_e32 v7, v11, v7
	v_fma_f32 v11, v12, s11, -v66
	v_fmac_f32_e32 v70, 0x3ed4b147, v67
	v_sub_f32_e32 v71, v17, v19
	v_add_f32_e32 v7, v11, v7
	v_fma_f32 v11, v67, s6, -v69
	v_add_f32_e32 v8, v70, v8
	v_add_f32_e32 v70, v18, v20
	v_mul_f32_e32 v72, 0xbf7d64f0, v71
	v_add_f32_e32 v7, v11, v7
	v_mul_f32_e32 v11, 0xbf4178ce, v6
	v_fma_f32 v73, v70, s7, -v72
	v_fmac_f32_e32 v72, 0xbe11bafb, v70
	v_mov_b32_e32 v66, v11
	v_mul_f32_e32 v69, 0x3f7d64f0, v10
	v_add_f32_e32 v8, v72, v8
	v_fmac_f32_e32 v66, 0xbf27a4f4, v5
	v_mov_b32_e32 v72, v69
	v_add_f32_e32 v66, v4, v66
	v_fmac_f32_e32 v72, 0xbe11bafb, v9
	v_add_f32_e32 v66, v72, v66
	v_mul_f32_e32 v72, 0xbf0a6770, v65
	v_add_f32_e32 v7, v73, v7
	v_mov_b32_e32 v73, v72
	v_fmac_f32_e32 v73, 0x3f575c64, v12
	v_add_f32_e32 v66, v73, v66
	v_mul_f32_e32 v73, 0xbe903f40, v68
	v_fma_f32 v11, v5, s11, -v11
	v_fma_f32 v74, v67, s14, -v73
	v_fmac_f32_e32 v73, 0xbf75a155, v67
	v_add_f32_e32 v11, v4, v11
	v_fma_f32 v69, v9, s7, -v69
	v_add_f32_e32 v66, v73, v66
	v_mul_f32_e32 v73, 0x3f68dda4, v71
	v_add_f32_e32 v11, v69, v11
	v_fma_f32 v69, v12, s10, -v72
	v_fma_f32 v75, v70, s6, -v73
	v_fmac_f32_e32 v73, 0x3ed4b147, v70
	v_add_f32_e32 v11, v69, v11
	v_mul_f32_e32 v69, 0xbf7d64f0, v6
	v_add_f32_e32 v66, v73, v66
	v_mov_b32_e32 v72, v69
	v_mul_f32_e32 v73, 0x3e903f40, v10
	v_add_f32_e32 v11, v74, v11
	v_fmac_f32_e32 v72, 0xbe11bafb, v5
	v_mov_b32_e32 v74, v73
	v_add_f32_e32 v72, v4, v72
	v_fmac_f32_e32 v74, 0xbf75a155, v9
	v_add_f32_e32 v72, v74, v72
	v_mul_f32_e32 v74, 0x3f68dda4, v65
	v_add_f32_e32 v11, v75, v11
	v_mov_b32_e32 v75, v74
	v_fmac_f32_e32 v75, 0x3ed4b147, v12
	v_add_f32_e32 v72, v75, v72
	v_mul_f32_e32 v75, 0xbf0a6770, v68
	v_fma_f32 v69, v5, s7, -v69
	v_fma_f32 v76, v67, s10, -v75
	v_fmac_f32_e32 v75, 0x3f575c64, v67
	v_add_f32_e32 v69, v4, v69
	v_fma_f32 v73, v9, s14, -v73
	v_add_f32_e32 v72, v75, v72
	v_mul_f32_e32 v75, 0xbf4178ce, v71
	v_add_f32_e32 v69, v73, v69
	v_fma_f32 v73, v12, s6, -v74
	v_fma_f32 v77, v70, s11, -v75
	v_fmac_f32_e32 v75, 0xbf27a4f4, v70
	v_add_f32_e32 v69, v73, v69
	v_mul_f32_e32 v73, 0xbf68dda4, v6
	v_add_f32_e32 v72, v75, v72
	v_mov_b32_e32 v74, v73
	v_mul_f32_e32 v75, 0xbf4178ce, v10
	v_add_f32_e32 v69, v76, v69
	v_fmac_f32_e32 v74, 0x3ed4b147, v5
	v_mov_b32_e32 v76, v75
	v_add_f32_e32 v74, v4, v74
	v_fmac_f32_e32 v76, 0xbf27a4f4, v9
	v_fma_f32 v73, v5, s6, -v73
	v_add_f32_e32 v74, v76, v74
	v_mul_f32_e32 v76, 0x3e903f40, v65
	v_add_f32_e32 v73, v4, v73
	v_fma_f32 v75, v9, s11, -v75
	v_add_f32_e32 v73, v75, v73
	v_fma_f32 v75, v12, s14, -v76
	v_mul_f32_e32 v6, 0xbf0a6770, v6
	v_add_f32_e32 v69, v77, v69
	v_mov_b32_e32 v77, v76
	v_add_f32_e32 v73, v75, v73
	v_mov_b32_e32 v75, v6
	v_fmac_f32_e32 v77, 0xbf75a155, v12
	v_fmac_f32_e32 v75, 0x3f575c64, v5
	v_mul_f32_e32 v10, 0xbf68dda4, v10
	v_fma_f32 v5, v5, s10, -v6
	v_add_f32_e32 v74, v77, v74
	v_mul_f32_e32 v77, 0x3f7d64f0, v68
	v_mul_f32_e32 v65, 0xbf7d64f0, v65
	v_add_f32_e32 v5, v4, v5
	v_fma_f32 v6, v9, s6, -v10
	v_fma_f32 v78, v67, s7, -v77
	v_fmac_f32_e32 v77, 0xbe11bafb, v67
	v_add_f32_e32 v75, v4, v75
	v_mul_f32_e32 v68, 0xbf4178ce, v68
	v_add_f32_e32 v5, v6, v5
	v_fma_f32 v6, v12, s7, -v65
	v_add_f32_e32 v4, v4, v31
	v_add_f32_e32 v74, v77, v74
	v_mul_f32_e32 v77, 0x3f0a6770, v71
	v_mul_f32_e32 v71, 0xbe903f40, v71
	v_add_f32_e32 v5, v6, v5
	v_fma_f32 v6, v67, s11, -v68
	v_add_f32_e32 v4, v4, v29
	v_mov_b32_e32 v76, v10
	v_add_f32_e32 v5, v6, v5
	v_fma_f32 v6, v70, s14, -v71
	v_add_f32_e32 v4, v4, v25
	v_fmac_f32_e32 v76, 0x3ed4b147, v9
	v_add_f32_e32 v5, v6, v5
	v_add_f32_e32 v4, v4, v14
	v_mul_lo_u32 v6, v63, 22
	v_add_f32_e32 v75, v76, v75
	v_mov_b32_e32 v76, v65
	v_add_f32_e32 v4, v4, v18
	v_fmac_f32_e32 v76, 0xbe11bafb, v12
	v_add_f32_e32 v4, v4, v20
	v_add_f32_e32 v75, v76, v75
	v_mov_b32_e32 v76, v68
	v_add_f32_e32 v4, v4, v22
	v_fmac_f32_e32 v76, 0xbf27a4f4, v67
	v_add_f32_e32 v4, v4, v15
	v_or_b32_e32 v6, v6, v2
	v_add_f32_e32 v75, v76, v75
	v_mov_b32_e32 v76, v71
	v_add_f32_e32 v4, v4, v16
	v_lshlrev_b32_e32 v6, 2, v6
	v_fma_f32 v79, v70, s10, -v77
	v_fmac_f32_e32 v77, 0x3f575c64, v70
	v_add_f32_e32 v73, v78, v73
	v_fmac_f32_e32 v76, 0xbf75a155, v70
	v_add_f32_e32 v4, v4, v28
	v_add3_u32 v6, 0, v6, v53
	v_add_f32_e32 v74, v77, v74
	v_add_f32_e32 v73, v79, v73
	;; [unrolled: 1-line block ×3, first 2 shown]
	ds_write2_b32 v6, v4, v5 offset1:2
	ds_write2_b32 v6, v73, v69 offset0:4 offset1:6
	ds_write2_b32 v6, v11, v7 offset0:8 offset1:10
	;; [unrolled: 1-line block ×4, first 2 shown]
	ds_write_b32 v6, v75 offset:80
.LBB0_18:
	s_or_b64 exec, exec, s[4:5]
	v_add_f32_e32 v4, v39, v59
	v_add_f32_e32 v4, v4, v58
	;; [unrolled: 1-line block ×8, first 2 shown]
	v_sub_f32_e32 v5, v60, v62
	v_add_f32_e32 v4, v4, v32
	v_mul_f32_e32 v6, 0xbf0a6770, v5
	v_mul_f32_e32 v8, 0xbf68dda4, v5
	;; [unrolled: 1-line block ×5, first 2 shown]
	v_add_f32_e32 v65, v4, v61
	v_add_f32_e32 v4, v59, v61
	v_mov_b32_e32 v7, v6
	v_mov_b32_e32 v9, v8
	;; [unrolled: 1-line block ×5, first 2 shown]
	v_fmac_f32_e32 v7, 0x3f575c64, v4
	v_fma_f32 v6, v4, s10, -v6
	v_fmac_f32_e32 v9, 0x3ed4b147, v4
	v_fma_f32 v8, v4, s6, -v8
	v_fmac_f32_e32 v11, 0xbe11bafb, v4
	v_fma_f32 v10, v4, s7, -v10
	v_fmac_f32_e32 v59, 0xbf27a4f4, v4
	v_fma_f32 v12, v4, s11, -v12
	v_fmac_f32_e32 v60, 0xbf75a155, v4
	v_fma_f32 v4, v4, s14, -v5
	v_add_f32_e32 v5, v58, v32
	v_sub_f32_e32 v32, v49, v48
	v_add_f32_e32 v7, v39, v7
	v_add_f32_e32 v6, v39, v6
	;; [unrolled: 1-line block ×10, first 2 shown]
	v_mul_f32_e32 v39, 0xbf68dda4, v32
	v_mov_b32_e32 v48, v39
	v_fma_f32 v39, v5, s6, -v39
	v_fmac_f32_e32 v48, 0x3ed4b147, v5
	v_add_f32_e32 v6, v39, v6
	v_mul_f32_e32 v39, 0xbf4178ce, v32
	v_add_f32_e32 v7, v48, v7
	v_mov_b32_e32 v48, v39
	v_fma_f32 v39, v5, s11, -v39
	v_fmac_f32_e32 v48, 0xbf27a4f4, v5
	v_add_f32_e32 v8, v39, v8
	v_mul_f32_e32 v39, 0x3e903f40, v32
	v_add_f32_e32 v9, v48, v9
	v_mov_b32_e32 v48, v39
	v_fma_f32 v39, v5, s14, -v39
	v_fmac_f32_e32 v48, 0xbf75a155, v5
	v_add_f32_e32 v10, v39, v10
	v_mul_f32_e32 v39, 0x3f7d64f0, v32
	v_add_f32_e32 v11, v48, v11
	v_mov_b32_e32 v48, v39
	v_fma_f32 v39, v5, s7, -v39
	v_mul_f32_e32 v32, 0x3f0a6770, v32
	v_add_f32_e32 v12, v39, v12
	v_mov_b32_e32 v39, v32
	v_fmac_f32_e32 v48, 0xbe11bafb, v5
	v_fmac_f32_e32 v39, 0x3f575c64, v5
	v_fma_f32 v5, v5, s10, -v32
	v_sub_f32_e32 v32, v46, v47
	v_add_f32_e32 v4, v5, v4
	v_add_f32_e32 v5, v43, v45
	v_mul_f32_e32 v43, 0xbf7d64f0, v32
	v_mov_b32_e32 v45, v43
	v_fma_f32 v43, v5, s7, -v43
	v_fmac_f32_e32 v45, 0xbe11bafb, v5
	v_add_f32_e32 v6, v43, v6
	v_mul_f32_e32 v43, 0x3e903f40, v32
	v_add_f32_e32 v7, v45, v7
	v_mov_b32_e32 v45, v43
	v_fma_f32 v43, v5, s14, -v43
	v_fmac_f32_e32 v45, 0xbf75a155, v5
	v_add_f32_e32 v8, v43, v8
	v_mul_f32_e32 v43, 0x3f68dda4, v32
	v_add_f32_e32 v9, v45, v9
	v_mov_b32_e32 v45, v43
	v_fma_f32 v43, v5, s6, -v43
	v_fmac_f32_e32 v45, 0x3ed4b147, v5
	v_add_f32_e32 v10, v43, v10
	v_mul_f32_e32 v43, 0xbf0a6770, v32
	v_add_f32_e32 v11, v45, v11
	v_mov_b32_e32 v45, v43
	v_fma_f32 v43, v5, s10, -v43
	v_mul_f32_e32 v32, 0xbf4178ce, v32
	v_add_f32_e32 v12, v43, v12
	v_mov_b32_e32 v43, v32
	v_fmac_f32_e32 v45, 0x3f575c64, v5
	v_fmac_f32_e32 v43, 0xbf27a4f4, v5
	v_fma_f32 v5, v5, s11, -v32
	v_sub_f32_e32 v32, v41, v44
	v_add_f32_e32 v4, v5, v4
	v_add_f32_e32 v5, v38, v34
	v_mul_f32_e32 v34, 0xbf4178ce, v32
	v_mov_b32_e32 v38, v34
	v_fma_f32 v34, v5, s11, -v34
	v_fmac_f32_e32 v38, 0xbf27a4f4, v5
	v_add_f32_e32 v6, v34, v6
	v_mul_f32_e32 v34, 0x3f7d64f0, v32
	v_add_f32_e32 v7, v38, v7
	v_mov_b32_e32 v38, v34
	v_fma_f32 v34, v5, s7, -v34
	v_fmac_f32_e32 v38, 0xbe11bafb, v5
	v_add_f32_e32 v8, v34, v8
	v_mul_f32_e32 v34, 0xbf0a6770, v32
	v_add_f32_e32 v9, v38, v9
	;; [unrolled: 6-line block ×3, first 2 shown]
	v_mov_b32_e32 v38, v34
	v_fma_f32 v34, v5, s14, -v34
	v_mul_f32_e32 v32, 0x3f68dda4, v32
	v_add_f32_e32 v12, v34, v12
	v_mov_b32_e32 v34, v32
	v_fmac_f32_e32 v38, 0xbf75a155, v5
	v_fmac_f32_e32 v34, 0x3ed4b147, v5
	v_fma_f32 v5, v5, s6, -v32
	v_sub_f32_e32 v32, v36, v33
	v_mul_f32_e32 v33, 0xbe903f40, v32
	v_add_f32_e32 v4, v5, v4
	v_add_f32_e32 v5, v35, v37
	v_mov_b32_e32 v35, v33
	v_fmac_f32_e32 v35, 0xbf75a155, v5
	v_add_f32_e32 v48, v48, v59
	v_add_f32_e32 v47, v35, v7
	v_fma_f32 v7, v5, s14, -v33
	v_add_f32_e32 v45, v45, v48
	v_add_f32_e32 v48, v7, v6
	v_mul_f32_e32 v6, 0x3f0a6770, v32
	v_mov_b32_e32 v7, v6
	v_fma_f32 v6, v5, s10, -v6
	v_fmac_f32_e32 v7, 0x3f575c64, v5
	v_add_f32_e32 v58, v6, v8
	v_mul_f32_e32 v6, 0xbf4178ce, v32
	v_add_f32_e32 v49, v7, v9
	v_mov_b32_e32 v7, v6
	v_fma_f32 v6, v5, s11, -v6
	v_add_f32_e32 v39, v39, v60
	v_fmac_f32_e32 v7, 0xbf27a4f4, v5
	v_add_f32_e32 v60, v6, v10
	v_mul_f32_e32 v6, 0x3f68dda4, v32
	v_add_f32_e32 v59, v7, v11
	v_mov_b32_e32 v7, v6
	v_fma_f32 v6, v5, s6, -v6
	v_add_f32_e32 v38, v38, v45
	v_fmac_f32_e32 v7, 0x3ed4b147, v5
	v_add_f32_e32 v62, v6, v12
	v_mul_f32_e32 v6, 0xbf7d64f0, v32
	v_add_f32_e32 v61, v7, v38
	v_mov_b32_e32 v7, v6
	v_fmac_f32_e32 v7, 0xbe11bafb, v5
	v_fma_f32 v5, v5, s7, -v6
	v_add_f32_e32 v67, v5, v4
	v_lshlrev_b32_e32 v4, 2, v54
	v_add_f32_e32 v39, v43, v39
	v_add3_u32 v33, 0, v4, v53
	v_lshlrev_b32_e32 v4, 2, v55
	v_add_f32_e32 v34, v34, v39
	v_add3_u32 v12, 0, v4, v53
	v_lshlrev_b32_e32 v4, 2, v56
	v_add_u32_e32 v35, 0x800, v42
	v_add_u32_e32 v36, 0xa00, v42
	;; [unrolled: 1-line block ×4, first 2 shown]
	v_add_f32_e32 v66, v7, v34
	s_waitcnt lgkmcnt(0)
	s_barrier
	ds_read_b32 v41, v40
	v_add3_u32 v32, 0, v4, v53
	ds_read2_b32 v[4:5], v35 offset0:27 offset1:104
	ds_read2_b32 v[6:7], v36 offset0:53 offset1:130
	;; [unrolled: 1-line block ×3, first 2 shown]
	v_add3_u32 v34, 0, v57, v53
	ds_read_b32 v45, v12
	ds_read_b32 v44, v32
	ds_read_b32 v39, v34
	ds_read2_b32 v[10:11], v38 offset0:39 offset1:193
	ds_read_b32 v46, v33
	ds_read_b32 v43, v42 offset:4004
	s_waitcnt lgkmcnt(0)
	s_barrier
	ds_write2_b32 v64, v65, v47 offset1:2
	ds_write2_b32 v64, v49, v59 offset0:4 offset1:6
	ds_write2_b32 v64, v61, v66 offset0:8 offset1:10
	;; [unrolled: 1-line block ×4, first 2 shown]
	ds_write_b32 v64, v48 offset:80
	s_and_saveexec_b64 s[4:5], s[0:1]
	s_cbranch_execz .LBB0_20
; %bb.19:
	v_add_f32_e32 v47, v3, v30
	v_add_f32_e32 v47, v47, v24
	;; [unrolled: 1-line block ×7, first 2 shown]
	v_sub_f32_e32 v28, v31, v28
	v_add_f32_e32 v47, v47, v26
	v_mul_f32_e32 v31, 0xbf0a6770, v28
	v_mul_f32_e32 v49, 0xbf68dda4, v28
	v_mul_f32_e32 v54, 0xbf7d64f0, v28
	v_mul_f32_e32 v56, 0xbf4178ce, v28
	v_mul_f32_e32 v28, 0xbe903f40, v28
	v_add_f32_e32 v47, v47, v27
	v_add_f32_e32 v30, v30, v50
	s_mov_b32 s0, 0x3f575c64
	s_mov_b32 s1, 0x3ed4b147
	;; [unrolled: 1-line block ×5, first 2 shown]
	v_mov_b32_e32 v58, v28
	v_sub_f32_e32 v16, v29, v16
	v_add_f32_e32 v47, v47, v50
	v_fma_f32 v48, v30, s0, -v31
	v_fmac_f32_e32 v31, 0x3f575c64, v30
	v_fma_f32 v50, v30, s1, -v49
	v_fmac_f32_e32 v49, 0x3ed4b147, v30
	;; [unrolled: 2-line block ×4, first 2 shown]
	v_fmac_f32_e32 v58, 0xbf75a155, v30
	v_fma_f32 v28, v30, s10, -v28
	v_add_f32_e32 v24, v24, v27
	v_mul_f32_e32 v27, 0xbf68dda4, v16
	v_add_f32_e32 v31, v3, v31
	v_add_f32_e32 v48, v3, v48
	;; [unrolled: 1-line block ×10, first 2 shown]
	v_fma_f32 v28, v24, s1, -v27
	v_fmac_f32_e32 v27, 0x3ed4b147, v24
	v_mul_f32_e32 v29, 0xbf4178ce, v16
	v_add_f32_e32 v27, v27, v31
	v_fma_f32 v30, v24, s7, -v29
	v_fmac_f32_e32 v29, 0xbf27a4f4, v24
	v_mul_f32_e32 v31, 0x3e903f40, v16
	v_add_f32_e32 v28, v28, v48
	v_add_f32_e32 v29, v29, v49
	v_fma_f32 v48, v24, s10, -v31
	v_fmac_f32_e32 v31, 0xbf75a155, v24
	v_mul_f32_e32 v49, 0x3f7d64f0, v16
	v_mul_f32_e32 v16, 0x3f0a6770, v16
	v_add_f32_e32 v31, v31, v54
	v_mov_b32_e32 v54, v16
	v_fma_f32 v16, v24, s0, -v16
	v_sub_f32_e32 v15, v25, v15
	v_add_f32_e32 v3, v16, v3
	v_add_f32_e32 v16, v23, v26
	v_mul_f32_e32 v23, 0xbf7d64f0, v15
	v_add_f32_e32 v30, v30, v50
	v_fma_f32 v50, v24, s6, -v49
	v_fmac_f32_e32 v49, 0xbe11bafb, v24
	v_fmac_f32_e32 v54, 0x3f575c64, v24
	v_fma_f32 v24, v16, s6, -v23
	v_fmac_f32_e32 v23, 0xbe11bafb, v16
	v_mul_f32_e32 v25, 0x3e903f40, v15
	v_add_f32_e32 v23, v23, v27
	v_fma_f32 v26, v16, s10, -v25
	v_fmac_f32_e32 v25, 0xbf75a155, v16
	v_mul_f32_e32 v27, 0x3f68dda4, v15
	v_add_f32_e32 v24, v24, v28
	v_add_f32_e32 v25, v25, v29
	v_fma_f32 v28, v16, s1, -v27
	v_fmac_f32_e32 v27, 0x3ed4b147, v16
	v_mul_f32_e32 v29, 0xbf0a6770, v15
	v_mul_f32_e32 v15, 0xbf4178ce, v15
	v_add_f32_e32 v27, v27, v31
	v_mov_b32_e32 v31, v15
	v_fma_f32 v15, v16, s7, -v15
	v_sub_f32_e32 v14, v14, v22
	v_add_f32_e32 v3, v15, v3
	v_add_f32_e32 v13, v13, v21
	v_mul_f32_e32 v15, 0xbf4178ce, v14
	v_add_f32_e32 v26, v26, v30
	v_fma_f32 v30, v16, s0, -v29
	v_fmac_f32_e32 v29, 0x3f575c64, v16
	v_fmac_f32_e32 v31, 0xbf27a4f4, v16
	v_fma_f32 v16, v13, s7, -v15
	v_fmac_f32_e32 v15, 0xbf27a4f4, v13
	v_mul_f32_e32 v21, 0x3f7d64f0, v14
	v_add_f32_e32 v15, v15, v23
	v_fma_f32 v22, v13, s6, -v21
	v_fmac_f32_e32 v21, 0xbe11bafb, v13
	v_mul_f32_e32 v23, 0xbf0a6770, v14
	v_add_f32_e32 v16, v16, v24
	v_add_f32_e32 v21, v21, v25
	v_fma_f32 v24, v13, s0, -v23
	v_fmac_f32_e32 v23, 0x3f575c64, v13
	v_mul_f32_e32 v25, 0xbe903f40, v14
	v_mul_f32_e32 v14, 0x3f68dda4, v14
	v_add_f32_e32 v23, v23, v27
	v_mov_b32_e32 v27, v14
	v_add_f32_e32 v48, v48, v55
	v_add_f32_e32 v22, v22, v26
	v_fma_f32 v26, v13, s10, -v25
	v_fmac_f32_e32 v25, 0xbf75a155, v13
	v_fmac_f32_e32 v27, 0x3ed4b147, v13
	v_fma_f32 v13, v13, s1, -v14
	v_sub_f32_e32 v14, v18, v20
	v_add_f32_e32 v28, v28, v48
	v_add_f32_e32 v3, v13, v3
	v_add_f32_e32 v13, v17, v19
	v_mul_f32_e32 v19, 0xbf4178ce, v14
	v_add_f32_e32 v24, v24, v28
	v_fma_f32 v20, v13, s7, -v19
	v_mul_f32_e32 v17, 0xbe903f40, v14
	v_add_f32_e32 v20, v20, v24
	v_mul_lo_u32 v24, v63, 22
	v_fma_f32 v18, v13, s10, -v17
	v_fmac_f32_e32 v17, 0xbf75a155, v13
	v_add_f32_e32 v15, v17, v15
	v_mul_f32_e32 v17, 0x3f0a6770, v14
	v_add_f32_e32 v16, v18, v16
	v_fma_f32 v18, v13, s0, -v17
	v_fmac_f32_e32 v17, 0x3f575c64, v13
	v_add_f32_e32 v49, v49, v56
	v_add_f32_e32 v50, v50, v57
	;; [unrolled: 1-line block ×4, first 2 shown]
	v_fmac_f32_e32 v19, 0xbf27a4f4, v13
	v_mul_f32_e32 v21, 0x3f68dda4, v14
	v_mul_f32_e32 v14, 0xbf7d64f0, v14
	v_or_b32_e32 v2, v24, v2
	v_add_f32_e32 v29, v29, v49
	v_add_f32_e32 v30, v30, v50
	;; [unrolled: 1-line block ×4, first 2 shown]
	v_mov_b32_e32 v23, v14
	v_lshlrev_b32_e32 v2, 2, v2
	v_add_f32_e32 v25, v25, v29
	v_add_f32_e32 v26, v26, v30
	;; [unrolled: 1-line block ×4, first 2 shown]
	v_fma_f32 v22, v13, s1, -v21
	v_fmac_f32_e32 v21, 0x3ed4b147, v13
	v_fmac_f32_e32 v23, 0xbe11bafb, v13
	v_fma_f32 v13, v13, s6, -v14
	v_add3_u32 v2, 0, v2, v53
	v_add_f32_e32 v21, v21, v25
	v_add_f32_e32 v22, v22, v26
	;; [unrolled: 1-line block ×4, first 2 shown]
	ds_write2_b32 v2, v47, v15 offset1:2
	ds_write2_b32 v2, v17, v19 offset0:4 offset1:6
	ds_write2_b32 v2, v21, v23 offset0:8 offset1:10
	;; [unrolled: 1-line block ×4, first 2 shown]
	ds_write_b32 v2, v16 offset:80
.LBB0_20:
	s_or_b64 exec, exec, s[4:5]
	v_lshrrev_b16_e32 v2, 1, v51
	v_and_b32_e32 v2, 0x7f, v2
	v_mul_lo_u16_e32 v2, 0xbb, v2
	v_lshrrev_b16_e32 v31, 11, v2
	v_mul_lo_u16_e32 v2, 22, v31
	v_lshrrev_b16_e32 v21, 1, v52
	v_sub_u16_e32 v62, v51, v2
	v_mov_b32_e32 v2, 6
	v_and_b32_e32 v21, 0x7f, v21
	v_mul_u32_u24_sdwa v3, v62, v2 dst_sel:DWORD dst_unused:UNUSED_PAD src0_sel:BYTE_0 src1_sel:DWORD
	v_mul_lo_u16_e32 v25, 0xbb, v21
	v_lshlrev_b32_e32 v3, 3, v3
	v_lshrrev_b16_e32 v63, 11, v25
	s_waitcnt lgkmcnt(0)
	s_barrier
	global_load_dwordx4 v[13:16], v3, s[8:9] offset:160
	global_load_dwordx4 v[17:20], v3, s[8:9] offset:176
	;; [unrolled: 1-line block ×3, first 2 shown]
	v_mul_lo_u16_e32 v3, 22, v63
	v_sub_u16_e32 v64, v52, v3
	v_mul_u32_u24_sdwa v2, v64, v2 dst_sel:DWORD dst_unused:UNUSED_PAD src0_sel:BYTE_0 src1_sel:DWORD
	v_lshlrev_b32_e32 v2, 3, v2
	global_load_dwordx4 v[25:28], v2, s[8:9] offset:160
	global_load_dwordx4 v[47:50], v2, s[8:9] offset:176
	;; [unrolled: 1-line block ×3, first 2 shown]
	ds_read_b32 v65, v40
	ds_read2_b32 v[2:3], v35 offset0:27 offset1:104
	ds_read2_b32 v[29:30], v36 offset0:53 offset1:130
	;; [unrolled: 1-line block ×3, first 2 shown]
	ds_read_b32 v66, v33
	ds_read_b32 v67, v12
	;; [unrolled: 1-line block ×4, first 2 shown]
	ds_read2_b32 v[60:61], v38 offset0:39 offset1:193
	ds_read_b32 v70, v42 offset:4004
	s_mov_b32 s0, 0x3f5ff5aa
	s_mov_b32 s1, 0x3f3bfb3b
	;; [unrolled: 1-line block ×4, first 2 shown]
	s_movk_i32 s6, 0x268
	s_waitcnt vmcnt(0) lgkmcnt(0)
	s_barrier
	v_mul_f32_e32 v71, v66, v14
	v_mul_f32_e32 v14, v46, v14
	;; [unrolled: 1-line block ×11, first 2 shown]
	v_fma_f32 v46, v46, v13, -v71
	v_mul_f32_e32 v24, v9, v24
	v_fmac_f32_e32 v14, v66, v13
	v_mul_f32_e32 v13, v60, v26
	v_fma_f32 v45, v45, v15, -v72
	v_fmac_f32_e32 v16, v67, v15
	v_mul_f32_e32 v66, v2, v48
	v_mul_f32_e32 v48, v4, v48
	;; [unrolled: 1-line block ×3, first 2 shown]
	v_fma_f32 v44, v44, v17, -v73
	v_fmac_f32_e32 v18, v68, v17
	v_mul_f32_e32 v17, v58, v55
	v_fma_f32 v7, v7, v21, -v75
	v_fma_f32 v9, v9, v23, -v76
	v_mul_f32_e32 v26, v10, v26
	v_mul_f32_e32 v15, v61, v28
	;; [unrolled: 1-line block ×3, first 2 shown]
	v_fma_f32 v5, v5, v19, -v74
	v_fmac_f32_e32 v20, v3, v19
	v_mul_f32_e32 v19, v70, v57
	v_fmac_f32_e32 v22, v30, v21
	v_fmac_f32_e32 v24, v59, v23
	v_fma_f32 v10, v10, v25, -v13
	v_fmac_f32_e32 v48, v2, v47
	v_fma_f32 v2, v6, v49, -v67
	v_fma_f32 v6, v8, v54, -v17
	v_add_f32_e32 v13, v46, v9
	v_add_f32_e32 v17, v45, v7
	v_mul_f32_e32 v28, v11, v28
	v_mul_f32_e32 v3, v8, v55
	v_fma_f32 v11, v11, v27, -v15
	v_fma_f32 v8, v43, v56, -v19
	v_add_f32_e32 v15, v14, v24
	v_add_f32_e32 v19, v16, v22
	v_sub_f32_e32 v16, v16, v22
	v_add_f32_e32 v21, v44, v5
	v_add_f32_e32 v22, v18, v20
	v_sub_f32_e32 v18, v20, v18
	v_add_f32_e32 v20, v17, v13
	v_add_f32_e32 v23, v19, v15
	;; [unrolled: 1-line block ×3, first 2 shown]
	v_fmac_f32_e32 v26, v60, v25
	v_sub_f32_e32 v9, v46, v9
	v_sub_f32_e32 v14, v14, v24
	;; [unrolled: 1-line block ×10, first 2 shown]
	v_add_f32_e32 v21, v22, v23
	v_add_f32_e32 v22, v41, v20
	v_mul_f32_e32 v55, v43, v57
	v_fmac_f32_e32 v28, v61, v27
	v_fmac_f32_e32 v50, v29, v49
	v_add_f32_e32 v27, v5, v7
	v_add_f32_e32 v29, v18, v16
	v_sub_f32_e32 v30, v5, v7
	v_sub_f32_e32 v43, v18, v16
	;; [unrolled: 1-line block ×3, first 2 shown]
	v_add_f32_e32 v23, v65, v21
	v_mov_b32_e32 v45, v22
	v_sub_f32_e32 v5, v9, v5
	v_sub_f32_e32 v18, v14, v18
	;; [unrolled: 1-line block ×3, first 2 shown]
	v_add_f32_e32 v9, v27, v9
	v_add_f32_e32 v14, v29, v14
	v_mul_f32_e32 v13, 0x3f4a47b2, v13
	v_mul_f32_e32 v15, 0x3f4a47b2, v15
	;; [unrolled: 1-line block ×7, first 2 shown]
	v_fmac_f32_e32 v45, 0xbf955555, v20
	v_mov_b32_e32 v20, v23
	v_mul_f32_e32 v44, 0x3f5ff5aa, v16
	v_fmac_f32_e32 v20, 0xbf955555, v21
	v_fma_f32 v21, v24, s1, -v27
	v_fma_f32 v27, v25, s1, -v29
	;; [unrolled: 1-line block ×3, first 2 shown]
	v_fmac_f32_e32 v13, 0x3d64c772, v17
	v_fma_f32 v17, v25, s4, -v15
	v_fma_f32 v7, v7, s0, -v30
	v_fmac_f32_e32 v30, 0x3eae86e6, v5
	v_fma_f32 v16, v16, s0, -v41
	v_fmac_f32_e32 v41, 0x3eae86e6, v18
	;; [unrolled: 2-line block ×3, first 2 shown]
	v_fma_f32 v18, v18, s5, -v44
	v_add_f32_e32 v13, v13, v45
	v_add_f32_e32 v19, v21, v45
	;; [unrolled: 1-line block ×4, first 2 shown]
	v_fmac_f32_e32 v41, 0x3ee1c552, v14
	v_fmac_f32_e32 v7, 0x3ee1c552, v9
	;; [unrolled: 1-line block ×4, first 2 shown]
	v_fma_f32 v4, v4, v47, -v66
	v_fmac_f32_e32 v3, v58, v54
	v_fmac_f32_e32 v55, v70, v56
	v_add_f32_e32 v15, v15, v20
	v_add_f32_e32 v24, v24, v45
	v_fmac_f32_e32 v30, 0x3ee1c552, v9
	v_fmac_f32_e32 v18, 0x3ee1c552, v14
	v_add_f32_e32 v9, v41, v13
	v_sub_f32_e32 v25, v17, v5
	v_sub_f32_e32 v27, v19, v16
	v_add_f32_e32 v29, v7, v21
	v_add_f32_e32 v16, v16, v19
	v_sub_f32_e32 v19, v21, v7
	v_add_f32_e32 v17, v5, v17
	v_sub_f32_e32 v5, v13, v41
	v_add_f32_e32 v13, v10, v8
	v_add_f32_e32 v21, v11, v6
	v_sub_f32_e32 v20, v15, v30
	v_add_f32_e32 v14, v18, v24
	v_sub_f32_e32 v7, v24, v18
	v_add_f32_e32 v18, v30, v15
	v_add_f32_e32 v15, v26, v55
	;; [unrolled: 1-line block ×3, first 2 shown]
	v_sub_f32_e32 v6, v11, v6
	v_sub_f32_e32 v3, v28, v3
	v_add_f32_e32 v11, v4, v2
	v_add_f32_e32 v28, v21, v13
	v_sub_f32_e32 v8, v10, v8
	v_sub_f32_e32 v10, v26, v55
	v_add_f32_e32 v26, v48, v50
	v_add_f32_e32 v30, v24, v15
	v_sub_f32_e32 v41, v21, v13
	v_sub_f32_e32 v13, v13, v11
	;; [unrolled: 1-line block ×3, first 2 shown]
	v_add_f32_e32 v11, v11, v28
	v_sub_f32_e32 v2, v2, v4
	v_sub_f32_e32 v4, v50, v48
	;; [unrolled: 1-line block ×5, first 2 shown]
	v_add_f32_e32 v26, v26, v30
	v_add_f32_e32 v28, v39, v11
	v_add_f32_e32 v44, v2, v6
	v_add_f32_e32 v45, v4, v3
	v_sub_f32_e32 v46, v2, v6
	v_sub_f32_e32 v47, v4, v3
	;; [unrolled: 1-line block ×3, first 2 shown]
	v_add_f32_e32 v30, v69, v26
	v_mov_b32_e32 v49, v28
	v_sub_f32_e32 v2, v8, v2
	v_sub_f32_e32 v4, v10, v4
	;; [unrolled: 1-line block ×3, first 2 shown]
	v_add_f32_e32 v8, v44, v8
	v_add_f32_e32 v10, v45, v10
	v_mul_f32_e32 v13, 0x3f4a47b2, v13
	v_mul_f32_e32 v15, 0x3f4a47b2, v15
	;; [unrolled: 1-line block ×7, first 2 shown]
	v_fmac_f32_e32 v49, 0xbf955555, v11
	v_mov_b32_e32 v11, v30
	v_mul_f32_e32 v48, 0x3f5ff5aa, v3
	v_fmac_f32_e32 v11, 0xbf955555, v26
	v_fma_f32 v26, v41, s1, -v39
	v_fma_f32 v39, v43, s1, -v44
	;; [unrolled: 1-line block ×3, first 2 shown]
	v_fmac_f32_e32 v13, 0x3d64c772, v21
	v_fma_f32 v21, v43, s4, -v15
	v_fmac_f32_e32 v15, 0x3d64c772, v24
	v_fma_f32 v6, v6, s0, -v45
	;; [unrolled: 2-line block ×3, first 2 shown]
	v_fma_f32 v2, v2, s5, -v47
	v_fmac_f32_e32 v46, 0x3eae86e6, v4
	v_add_f32_e32 v15, v15, v11
	v_add_f32_e32 v24, v26, v49
	;; [unrolled: 1-line block ×4, first 2 shown]
	v_fmac_f32_e32 v6, 0x3ee1c552, v8
	v_fmac_f32_e32 v3, 0x3ee1c552, v10
	v_fmac_f32_e32 v2, 0x3ee1c552, v8
	v_add_f32_e32 v13, v13, v49
	v_add_f32_e32 v39, v41, v49
	v_fmac_f32_e32 v46, 0x3ee1c552, v10
	v_sub_f32_e32 v41, v11, v2
	v_sub_f32_e32 v43, v24, v3
	v_add_f32_e32 v44, v6, v26
	v_add_f32_e32 v3, v3, v24
	v_sub_f32_e32 v24, v26, v6
	v_add_f32_e32 v26, v2, v11
	v_mov_b32_e32 v11, 2
	v_fmac_f32_e32 v45, 0x3ee1c552, v8
	v_add_f32_e32 v8, v46, v13
	v_sub_f32_e32 v2, v13, v46
	v_mad_u32_u24 v6, v31, s6, 0
	v_lshlrev_b32_sdwa v13, v11, v62 dst_sel:DWORD dst_unused:UNUSED_PAD src0_sel:DWORD src1_sel:BYTE_0
	v_fma_f32 v4, v4, s5, -v48
	v_add3_u32 v31, v6, v13, v53
	v_fmac_f32_e32 v4, 0x3ee1c552, v10
	ds_write2_b32 v31, v22, v9 offset1:22
	ds_write2_b32 v31, v14, v27 offset0:44 offset1:66
	ds_write2_b32 v31, v16, v7 offset0:88 offset1:110
	ds_write_b32 v31, v5 offset:528
	v_mad_u32_u24 v5, v63, s6, 0
	v_lshlrev_b32_sdwa v6, v11, v64 dst_sel:DWORD dst_unused:UNUSED_PAD src0_sel:DWORD src1_sel:BYTE_0
	v_add_f32_e32 v10, v4, v39
	v_sub_f32_e32 v4, v39, v4
	v_add3_u32 v22, v5, v6, v53
	v_sub_f32_e32 v21, v15, v45
	v_add_f32_e32 v39, v45, v15
	ds_write2_b32 v22, v28, v8 offset1:22
	ds_write2_b32 v22, v10, v43 offset0:44 offset1:66
	ds_write2_b32 v22, v3, v4 offset0:88 offset1:110
	ds_write_b32 v22, v2 offset:528
	s_waitcnt lgkmcnt(0)
	s_barrier
	ds_read_b32 v10, v40
	ds_read2_b32 v[4:5], v35 offset0:27 offset1:104
	ds_read2_b32 v[2:3], v36 offset0:53 offset1:130
	;; [unrolled: 1-line block ×3, first 2 shown]
	ds_read_b32 v13, v32
	ds_read_b32 v15, v34
	ds_read2_b32 v[8:9], v38 offset0:39 offset1:193
	ds_read_b32 v11, v12
	ds_read_b32 v14, v33
	ds_read_b32 v16, v42 offset:4004
	s_waitcnt lgkmcnt(0)
	s_barrier
	ds_write2_b32 v31, v23, v20 offset1:22
	ds_write2_b32 v31, v25, v29 offset0:44 offset1:66
	ds_write2_b32 v31, v19, v17 offset0:88 offset1:110
	ds_write_b32 v31, v18 offset:528
	ds_write2_b32 v22, v30, v21 offset1:22
	ds_write2_b32 v22, v41, v44 offset0:44 offset1:66
	ds_write2_b32 v22, v24, v26 offset0:88 offset1:110
	ds_write_b32 v22, v39 offset:528
	s_waitcnt lgkmcnt(0)
	s_barrier
	s_and_saveexec_b64 s[6:7], vcc
	s_cbranch_execz .LBB0_22
; %bb.21:
	v_mul_i32_i24_e32 v17, 6, v52
	v_mov_b32_e32 v18, 0
	v_lshlrev_b64 v[17:18], 3, v[17:18]
	v_mov_b32_e32 v19, s9
	v_add_co_u32_e32 v29, vcc, s8, v17
	v_addc_co_u32_e32 v30, vcc, v19, v18, vcc
	global_load_dwordx4 v[17:20], v[29:30], off offset:1216
	global_load_dwordx4 v[21:24], v[29:30], off offset:1248
	;; [unrolled: 1-line block ×3, first 2 shown]
	v_mul_u32_u24_e32 v36, 6, v51
	v_add_u32_e32 v29, 0x300, v42
	v_add_u32_e32 v30, 0xa00, v42
	;; [unrolled: 1-line block ×4, first 2 shown]
	v_lshlrev_b32_e32 v55, 3, v36
	ds_read_b32 v49, v33
	ds_read_b32 v50, v34
	;; [unrolled: 1-line block ×4, first 2 shown]
	ds_read_b32 v53, v42 offset:4004
	ds_read_b32 v54, v40
	ds_read2_b32 v[41:42], v29 offset0:39 offset1:193
	ds_read2_b32 v[43:44], v30 offset0:53 offset1:130
	ds_read2_b32 v[45:46], v31 offset0:27 offset1:104
	ds_read2_b32 v[47:48], v35 offset0:79 offset1:156
	global_load_dwordx4 v[29:32], v55, s[8:9] offset:1248
	global_load_dwordx4 v[33:36], v55, s[8:9] offset:1232
	global_load_dwordx4 v[37:40], v55, s[8:9] offset:1216
	s_waitcnt vmcnt(5) lgkmcnt(3)
	v_mul_f32_e32 v55, v41, v18
	s_waitcnt vmcnt(4)
	v_mul_f32_e32 v56, v53, v24
	s_waitcnt vmcnt(3) lgkmcnt(2)
	v_mul_f32_e32 v57, v43, v28
	s_waitcnt lgkmcnt(1)
	v_mul_f32_e32 v58, v45, v26
	v_mul_f32_e32 v59, v42, v20
	s_waitcnt lgkmcnt(0)
	v_mul_f32_e32 v60, v47, v22
	v_mul_f32_e32 v24, v16, v24
	;; [unrolled: 1-line block ×7, first 2 shown]
	v_fma_f32 v8, v8, v17, -v55
	v_fma_f32 v16, v16, v23, -v56
	;; [unrolled: 1-line block ×6, first 2 shown]
	v_fmac_f32_e32 v24, v23, v53
	v_fmac_f32_e32 v18, v17, v41
	;; [unrolled: 1-line block ×6, first 2 shown]
	v_sub_f32_e32 v19, v2, v4
	v_add_f32_e32 v23, v18, v24
	v_add_f32_e32 v27, v20, v22
	;; [unrolled: 1-line block ×5, first 2 shown]
	v_sub_f32_e32 v17, v8, v16
	v_sub_f32_e32 v21, v9, v6
	v_add_f32_e32 v25, v28, v26
	v_add_f32_e32 v42, v23, v27
	v_sub_f32_e32 v45, v2, v4
	v_add_f32_e32 v47, v41, v4
	v_sub_f32_e32 v6, v17, v19
	v_sub_f32_e32 v8, v19, v21
	v_add_f32_e32 v9, v19, v21
	v_sub_f32_e32 v16, v23, v25
	v_sub_f32_e32 v19, v25, v27
	;; [unrolled: 1-line block ×3, first 2 shown]
	v_add_f32_e32 v25, v25, v42
	v_mul_f32_e32 v45, 0x3d64c772, v45
	v_add_f32_e32 v2, v2, v47
	v_mul_f32_e32 v53, 0xbf08b237, v8
	v_add_f32_e32 v55, v17, v9
	v_add_f32_e32 v9, v50, v25
	v_mov_b32_e32 v50, v45
	v_add_f32_e32 v8, v15, v2
	v_sub_f32_e32 v21, v21, v17
	v_mul_f32_e32 v56, 0x3f4a47b2, v16
	v_mul_f32_e32 v42, 0x3f4a47b2, v43
	v_mov_b32_e32 v47, v53
	v_mov_b32_e32 v58, v9
	v_fmac_f32_e32 v50, 0x3f4a47b2, v43
	v_mov_b32_e32 v43, v8
	v_sub_f32_e32 v24, v18, v24
	v_sub_f32_e32 v15, v28, v26
	;; [unrolled: 1-line block ×3, first 2 shown]
	v_mul_f32_e32 v17, 0x3f5ff5aa, v21
	v_sub_f32_e32 v23, v27, v23
	v_fmac_f32_e32 v47, 0x3eae86e6, v6
	v_fmac_f32_e32 v58, 0xbf955555, v25
	;; [unrolled: 1-line block ×3, first 2 shown]
	v_sub_f32_e32 v26, v24, v15
	v_sub_f32_e32 v18, v15, v20
	v_add_f32_e32 v15, v15, v20
	v_fma_f32 v6, v6, s5, -v17
	v_fma_f32 v17, v23, s4, -v56
	v_sub_f32_e32 v4, v4, v41
	v_mul_f32_e32 v19, 0x3d64c772, v19
	v_add_f32_e32 v2, v50, v43
	v_mul_f32_e32 v22, 0xbf08b237, v18
	v_add_f32_e32 v50, v24, v15
	v_add_f32_e32 v27, v17, v58
	v_fma_f32 v17, v4, s4, -v42
	v_sub_f32_e32 v24, v20, v24
	v_mov_b32_e32 v57, v19
	v_mov_b32_e32 v28, v22
	v_add_f32_e32 v41, v17, v43
	v_mul_f32_e32 v17, 0x3f5ff5aa, v24
	v_fmac_f32_e32 v57, 0x3f4a47b2, v16
	v_fmac_f32_e32 v28, 0x3eae86e6, v26
	v_fma_f32 v26, v26, s5, -v17
	v_fma_f32 v19, v23, s1, -v19
	;; [unrolled: 1-line block ×5, first 2 shown]
	v_fmac_f32_e32 v47, 0x3ee1c552, v55
	v_add_f32_e32 v25, v57, v58
	v_fmac_f32_e32 v28, 0x3ee1c552, v50
	v_fmac_f32_e32 v6, 0x3ee1c552, v55
	;; [unrolled: 1-line block ×3, first 2 shown]
	v_add_f32_e32 v23, v19, v58
	v_fmac_f32_e32 v21, 0x3ee1c552, v55
	v_fmac_f32_e32 v24, 0x3ee1c552, v50
	v_add_f32_e32 v4, v4, v43
	v_add_f32_e32 v16, v47, v25
	v_sub_f32_e32 v15, v2, v28
	v_add_f32_e32 v18, v6, v27
	v_sub_f32_e32 v17, v41, v26
	v_sub_f32_e32 v20, v23, v21
	v_add_f32_e32 v19, v24, v4
	v_add_f32_e32 v22, v21, v23
	v_sub_f32_e32 v21, v4, v24
	v_sub_f32_e32 v24, v27, v6
	v_add_f32_e32 v23, v26, v41
	v_sub_f32_e32 v26, v25, v47
	v_add_f32_e32 v25, v28, v2
	s_waitcnt vmcnt(0)
	v_mul_f32_e32 v2, v49, v38
	v_mul_f32_e32 v4, v48, v32
	;; [unrolled: 1-line block ×6, first 2 shown]
	v_fma_f32 v2, v14, v37, -v2
	v_fma_f32 v4, v7, v31, -v4
	;; [unrolled: 1-line block ×6, first 2 shown]
	v_sub_f32_e32 v6, v2, v4
	v_sub_f32_e32 v41, v27, v28
	v_mul_f32_e32 v7, v7, v32
	v_mul_f32_e32 v14, v14, v38
	;; [unrolled: 1-line block ×3, first 2 shown]
	v_add_f32_e32 v36, v2, v4
	v_add_f32_e32 v2, v27, v28
	;; [unrolled: 1-line block ×3, first 2 shown]
	v_fmac_f32_e32 v14, v37, v49
	v_mul_f32_e32 v13, v13, v34
	v_mul_f32_e32 v30, v3, v30
	;; [unrolled: 1-line block ×3, first 2 shown]
	v_sub_f32_e32 v37, v2, v28
	v_fmac_f32_e32 v13, v33, v52
	v_fmac_f32_e32 v32, v35, v46
	;; [unrolled: 1-line block ×4, first 2 shown]
	v_mul_f32_e32 v37, 0x3d64c772, v37
	v_fmac_f32_e32 v7, v31, v48
	v_add_f32_e32 v5, v32, v13
	v_add_f32_e32 v12, v11, v30
	v_sub_f32_e32 v4, v36, v2
	v_mov_b32_e32 v38, v37
	v_add_f32_e32 v31, v14, v7
	v_sub_f32_e32 v3, v5, v12
	v_mul_f32_e32 v27, 0x3f4a47b2, v4
	v_fmac_f32_e32 v38, 0x3f4a47b2, v4
	v_add_f32_e32 v4, v36, v28
	v_sub_f32_e32 v47, v43, v45
	v_mul_f32_e32 v29, 0x3d64c772, v3
	v_add_f32_e32 v3, v31, v12
	v_add_f32_e32 v4, v2, v4
	v_sub_f32_e32 v50, v41, v47
	v_sub_f32_e32 v33, v31, v5
	v_add_f32_e32 v5, v5, v3
	v_add_f32_e32 v2, v10, v4
	v_sub_f32_e32 v42, v6, v41
	v_mul_f32_e32 v50, 0xbf08b237, v50
	v_add_f32_e32 v41, v41, v47
	v_mov_b32_e32 v35, v29
	v_add_f32_e32 v3, v54, v5
	v_mov_b32_e32 v10, v2
	v_sub_f32_e32 v40, v47, v6
	v_mov_b32_e32 v53, v50
	v_add_f32_e32 v41, v6, v41
	v_mul_f32_e32 v34, 0x3f4a47b2, v33
	v_fmac_f32_e32 v35, 0x3f4a47b2, v33
	v_mov_b32_e32 v33, v3
	v_fmac_f32_e32 v10, 0xbf955555, v4
	v_sub_f32_e32 v14, v14, v7
	v_sub_f32_e32 v4, v32, v13
	;; [unrolled: 1-line block ×3, first 2 shown]
	v_mul_f32_e32 v6, 0x3f5ff5aa, v40
	v_sub_f32_e32 v12, v12, v31
	v_fmac_f32_e32 v53, 0x3eae86e6, v42
	v_fmac_f32_e32 v33, 0xbf955555, v5
	v_sub_f32_e32 v13, v14, v4
	v_sub_f32_e32 v7, v4, v11
	v_add_f32_e32 v4, v4, v11
	v_fma_f32 v42, v42, s5, -v6
	v_fma_f32 v6, v12, s4, -v34
	v_sub_f32_e32 v28, v28, v36
	v_mul_f32_e32 v30, 0xbf08b237, v7
	v_add_f32_e32 v32, v14, v4
	v_add_f32_e32 v31, v6, v33
	v_fma_f32 v6, v28, s4, -v27
	v_sub_f32_e32 v14, v11, v14
	v_mov_b32_e32 v39, v30
	v_add_f32_e32 v34, v6, v10
	v_mul_f32_e32 v6, 0x3f5ff5aa, v14
	v_fma_f32 v11, v12, s1, -v29
	v_fma_f32 v12, v28, s1, -v37
	v_fmac_f32_e32 v39, 0x3eae86e6, v13
	v_fma_f32 v36, v13, s5, -v6
	v_fma_f32 v29, v40, s0, -v50
	;; [unrolled: 1-line block ×3, first 2 shown]
	v_add_f32_e32 v30, v12, v10
	v_mad_u64_u32 v[12:13], s[0:1], s2, v51, 0
	v_fmac_f32_e32 v53, 0x3ee1c552, v41
	v_add_f32_e32 v35, v35, v33
	v_add_f32_e32 v5, v53, v35
	v_fmac_f32_e32 v39, 0x3ee1c552, v32
	v_fmac_f32_e32 v36, 0x3ee1c552, v32
	v_add_f32_e32 v27, v11, v33
	v_fmac_f32_e32 v29, 0x3ee1c552, v41
	v_fmac_f32_e32 v14, 0x3ee1c552, v32
	v_sub_f32_e32 v32, v35, v53
	v_add_u32_e32 v35, 0x9a, v51
	v_add_f32_e32 v38, v38, v10
	v_sub_f32_e32 v6, v34, v36
	v_sub_f32_e32 v11, v27, v29
	v_add_f32_e32 v10, v14, v30
	v_add_f32_e32 v28, v29, v27
	v_sub_f32_e32 v27, v30, v14
	v_mad_u64_u32 v[13:14], s[0:1], s3, v51, v[13:14]
	v_add_f32_e32 v29, v36, v34
	v_mad_u64_u32 v[33:34], s[0:1], s2, v35, 0
	v_mov_b32_e32 v14, s13
	v_add_co_u32_e32 v36, vcc, s12, v0
	v_addc_co_u32_e32 v37, vcc, v14, v1, vcc
	v_lshlrev_b64 v[0:1], 3, v[12:13]
	v_mov_b32_e32 v12, v34
	v_mad_u64_u32 v[12:13], s[0:1], s3, v35, v[12:13]
	v_add_co_u32_e32 v0, vcc, v36, v0
	v_addc_co_u32_e32 v1, vcc, v37, v1, vcc
	v_mov_b32_e32 v34, v12
	v_add_u32_e32 v12, 0x134, v51
	global_store_dwordx2 v[0:1], v[2:3], off
	v_mad_u64_u32 v[2:3], s[0:1], s2, v12, 0
	v_sub_f32_e32 v4, v38, v39
	v_lshlrev_b64 v[0:1], 3, v[33:34]
	v_mad_u64_u32 v[12:13], s[0:1], s3, v12, v[3:4]
	v_add_u32_e32 v33, 0x1ce, v51
	v_mad_u64_u32 v[13:14], s[0:1], s2, v33, 0
	v_fmac_f32_e32 v42, 0x3ee1c552, v41
	v_add_co_u32_e32 v0, vcc, v36, v0
	v_add_f32_e32 v7, v42, v31
	v_sub_f32_e32 v30, v31, v42
	v_add_f32_e32 v31, v39, v38
	v_addc_co_u32_e32 v1, vcc, v37, v1, vcc
	v_mov_b32_e32 v3, v12
	global_store_dwordx2 v[0:1], v[31:32], off
	v_lshlrev_b64 v[0:1], 3, v[2:3]
	v_mov_b32_e32 v2, v14
	v_mad_u64_u32 v[2:3], s[0:1], s3, v33, v[2:3]
	v_add_u32_e32 v12, 0x268, v51
	v_add_co_u32_e32 v0, vcc, v36, v0
	v_mov_b32_e32 v14, v2
	v_mad_u64_u32 v[2:3], s[0:1], s2, v12, 0
	v_addc_co_u32_e32 v1, vcc, v37, v1, vcc
	global_store_dwordx2 v[0:1], v[29:30], off
	v_lshlrev_b64 v[0:1], 3, v[13:14]
	v_mad_u64_u32 v[12:13], s[0:1], s3, v12, v[3:4]
	v_add_u32_e32 v29, 0x302, v51
	v_mad_u64_u32 v[13:14], s[0:1], s2, v29, 0
	v_add_co_u32_e32 v0, vcc, v36, v0
	v_addc_co_u32_e32 v1, vcc, v37, v1, vcc
	v_mov_b32_e32 v3, v12
	global_store_dwordx2 v[0:1], v[27:28], off
	v_lshlrev_b64 v[0:1], 3, v[2:3]
	v_mov_b32_e32 v2, v14
	v_mad_u64_u32 v[2:3], s[0:1], s3, v29, v[2:3]
	v_add_co_u32_e32 v0, vcc, v36, v0
	v_addc_co_u32_e32 v1, vcc, v37, v1, vcc
	global_store_dwordx2 v[0:1], v[10:11], off
	v_add_u32_e32 v10, 0x39c, v51
	v_mov_b32_e32 v14, v2
	v_mad_u64_u32 v[2:3], s[0:1], s2, v10, 0
	v_add_u32_e32 v12, 0x4d, v51
	s_mov_b32 s0, 0x3531dec1
	v_lshlrev_b64 v[0:1], 3, v[13:14]
	v_mul_hi_u32 v13, v12, s0
	s_movk_i32 s4, 0x39c
	v_mad_u64_u32 v[10:11], s[0:1], s3, v10, v[3:4]
	v_lshrrev_b32_e32 v3, 5, v13
	v_mad_u32_u24 v13, v3, s4, v12
	v_mad_u64_u32 v[11:12], s[0:1], s2, v13, 0
	v_add_co_u32_e32 v0, vcc, v36, v0
	v_addc_co_u32_e32 v1, vcc, v37, v1, vcc
	v_mov_b32_e32 v3, v10
	global_store_dwordx2 v[0:1], v[6:7], off
	v_lshlrev_b64 v[0:1], 3, v[2:3]
	v_mov_b32_e32 v2, v12
	v_mad_u64_u32 v[2:3], s[0:1], s3, v13, v[2:3]
	v_add_co_u32_e32 v0, vcc, v36, v0
	v_addc_co_u32_e32 v1, vcc, v37, v1, vcc
	global_store_dwordx2 v[0:1], v[4:5], off
	v_add_u32_e32 v4, 0x9a, v13
	v_mov_b32_e32 v12, v2
	v_mad_u64_u32 v[2:3], s[0:1], s2, v4, 0
	v_add_u32_e32 v6, 0x134, v13
	v_lshlrev_b64 v[0:1], 3, v[11:12]
	v_mad_u64_u32 v[3:4], s[0:1], s3, v4, v[3:4]
	v_mad_u64_u32 v[4:5], s[0:1], s2, v6, 0
	v_add_co_u32_e32 v0, vcc, v36, v0
	v_addc_co_u32_e32 v1, vcc, v37, v1, vcc
	global_store_dwordx2 v[0:1], v[8:9], off
	v_lshlrev_b64 v[0:1], 3, v[2:3]
	v_mov_b32_e32 v2, v5
	v_mad_u64_u32 v[2:3], s[0:1], s3, v6, v[2:3]
	v_add_co_u32_e32 v0, vcc, v36, v0
	v_addc_co_u32_e32 v1, vcc, v37, v1, vcc
	v_mov_b32_e32 v5, v2
	global_store_dwordx2 v[0:1], v[25:26], off
	v_lshlrev_b64 v[0:1], 3, v[4:5]
	v_add_u32_e32 v4, 0x1ce, v13
	v_mad_u64_u32 v[2:3], s[0:1], s2, v4, 0
	v_add_u32_e32 v6, 0x268, v13
	v_add_co_u32_e32 v0, vcc, v36, v0
	v_mad_u64_u32 v[3:4], s[0:1], s3, v4, v[3:4]
	v_mad_u64_u32 v[4:5], s[0:1], s2, v6, 0
	v_addc_co_u32_e32 v1, vcc, v37, v1, vcc
	global_store_dwordx2 v[0:1], v[23:24], off
	v_lshlrev_b64 v[0:1], 3, v[2:3]
	v_mov_b32_e32 v2, v5
	v_mad_u64_u32 v[2:3], s[0:1], s3, v6, v[2:3]
	v_add_co_u32_e32 v0, vcc, v36, v0
	v_addc_co_u32_e32 v1, vcc, v37, v1, vcc
	v_mov_b32_e32 v5, v2
	global_store_dwordx2 v[0:1], v[21:22], off
	v_lshlrev_b64 v[0:1], 3, v[4:5]
	v_add_u32_e32 v4, 0x302, v13
	v_mad_u64_u32 v[2:3], s[0:1], s2, v4, 0
	v_add_u32_e32 v6, 0x39c, v13
	v_add_co_u32_e32 v0, vcc, v36, v0
	v_mad_u64_u32 v[3:4], s[0:1], s3, v4, v[3:4]
	v_mad_u64_u32 v[4:5], s[0:1], s2, v6, 0
	v_addc_co_u32_e32 v1, vcc, v37, v1, vcc
	global_store_dwordx2 v[0:1], v[19:20], off
	v_lshlrev_b64 v[0:1], 3, v[2:3]
	v_mov_b32_e32 v2, v5
	v_mad_u64_u32 v[2:3], s[0:1], s3, v6, v[2:3]
	v_add_co_u32_e32 v0, vcc, v36, v0
	v_addc_co_u32_e32 v1, vcc, v37, v1, vcc
	v_mov_b32_e32 v5, v2
	global_store_dwordx2 v[0:1], v[17:18], off
	v_lshlrev_b64 v[0:1], 3, v[4:5]
	v_add_co_u32_e32 v0, vcc, v36, v0
	v_addc_co_u32_e32 v1, vcc, v37, v1, vcc
	global_store_dwordx2 v[0:1], v[15:16], off
.LBB0_22:
	s_endpgm
	.section	.rodata,"a",@progbits
	.p2align	6, 0x0
	.amdhsa_kernel fft_rtc_fwd_len1078_factors_2_11_7_7_wgs_231_tpt_77_halfLds_sp_ip_CI_sbrr_dirReg
		.amdhsa_group_segment_fixed_size 0
		.amdhsa_private_segment_fixed_size 0
		.amdhsa_kernarg_size 88
		.amdhsa_user_sgpr_count 6
		.amdhsa_user_sgpr_private_segment_buffer 1
		.amdhsa_user_sgpr_dispatch_ptr 0
		.amdhsa_user_sgpr_queue_ptr 0
		.amdhsa_user_sgpr_kernarg_segment_ptr 1
		.amdhsa_user_sgpr_dispatch_id 0
		.amdhsa_user_sgpr_flat_scratch_init 0
		.amdhsa_user_sgpr_private_segment_size 0
		.amdhsa_uses_dynamic_stack 0
		.amdhsa_system_sgpr_private_segment_wavefront_offset 0
		.amdhsa_system_sgpr_workgroup_id_x 1
		.amdhsa_system_sgpr_workgroup_id_y 0
		.amdhsa_system_sgpr_workgroup_id_z 0
		.amdhsa_system_sgpr_workgroup_info 0
		.amdhsa_system_vgpr_workitem_id 0
		.amdhsa_next_free_vgpr 80
		.amdhsa_next_free_sgpr 24
		.amdhsa_reserve_vcc 1
		.amdhsa_reserve_flat_scratch 0
		.amdhsa_float_round_mode_32 0
		.amdhsa_float_round_mode_16_64 0
		.amdhsa_float_denorm_mode_32 3
		.amdhsa_float_denorm_mode_16_64 3
		.amdhsa_dx10_clamp 1
		.amdhsa_ieee_mode 1
		.amdhsa_fp16_overflow 0
		.amdhsa_exception_fp_ieee_invalid_op 0
		.amdhsa_exception_fp_denorm_src 0
		.amdhsa_exception_fp_ieee_div_zero 0
		.amdhsa_exception_fp_ieee_overflow 0
		.amdhsa_exception_fp_ieee_underflow 0
		.amdhsa_exception_fp_ieee_inexact 0
		.amdhsa_exception_int_div_zero 0
	.end_amdhsa_kernel
	.text
.Lfunc_end0:
	.size	fft_rtc_fwd_len1078_factors_2_11_7_7_wgs_231_tpt_77_halfLds_sp_ip_CI_sbrr_dirReg, .Lfunc_end0-fft_rtc_fwd_len1078_factors_2_11_7_7_wgs_231_tpt_77_halfLds_sp_ip_CI_sbrr_dirReg
                                        ; -- End function
	.section	.AMDGPU.csdata,"",@progbits
; Kernel info:
; codeLenInByte = 11520
; NumSgprs: 28
; NumVgprs: 80
; ScratchSize: 0
; MemoryBound: 0
; FloatMode: 240
; IeeeMode: 1
; LDSByteSize: 0 bytes/workgroup (compile time only)
; SGPRBlocks: 3
; VGPRBlocks: 19
; NumSGPRsForWavesPerEU: 28
; NumVGPRsForWavesPerEU: 80
; Occupancy: 3
; WaveLimiterHint : 1
; COMPUTE_PGM_RSRC2:SCRATCH_EN: 0
; COMPUTE_PGM_RSRC2:USER_SGPR: 6
; COMPUTE_PGM_RSRC2:TRAP_HANDLER: 0
; COMPUTE_PGM_RSRC2:TGID_X_EN: 1
; COMPUTE_PGM_RSRC2:TGID_Y_EN: 0
; COMPUTE_PGM_RSRC2:TGID_Z_EN: 0
; COMPUTE_PGM_RSRC2:TIDIG_COMP_CNT: 0
	.type	__hip_cuid_a71d253cde63abc5,@object ; @__hip_cuid_a71d253cde63abc5
	.section	.bss,"aw",@nobits
	.globl	__hip_cuid_a71d253cde63abc5
__hip_cuid_a71d253cde63abc5:
	.byte	0                               ; 0x0
	.size	__hip_cuid_a71d253cde63abc5, 1

	.ident	"AMD clang version 19.0.0git (https://github.com/RadeonOpenCompute/llvm-project roc-6.4.0 25133 c7fe45cf4b819c5991fe208aaa96edf142730f1d)"
	.section	".note.GNU-stack","",@progbits
	.addrsig
	.addrsig_sym __hip_cuid_a71d253cde63abc5
	.amdgpu_metadata
---
amdhsa.kernels:
  - .args:
      - .actual_access:  read_only
        .address_space:  global
        .offset:         0
        .size:           8
        .value_kind:     global_buffer
      - .offset:         8
        .size:           8
        .value_kind:     by_value
      - .actual_access:  read_only
        .address_space:  global
        .offset:         16
        .size:           8
        .value_kind:     global_buffer
      - .actual_access:  read_only
        .address_space:  global
        .offset:         24
        .size:           8
        .value_kind:     global_buffer
      - .offset:         32
        .size:           8
        .value_kind:     by_value
      - .actual_access:  read_only
        .address_space:  global
        .offset:         40
        .size:           8
        .value_kind:     global_buffer
      - .actual_access:  read_only
        .address_space:  global
        .offset:         48
        .size:           8
        .value_kind:     global_buffer
      - .offset:         56
        .size:           4
        .value_kind:     by_value
      - .actual_access:  read_only
        .address_space:  global
        .offset:         64
        .size:           8
        .value_kind:     global_buffer
      - .actual_access:  read_only
        .address_space:  global
        .offset:         72
        .size:           8
        .value_kind:     global_buffer
      - .address_space:  global
        .offset:         80
        .size:           8
        .value_kind:     global_buffer
    .group_segment_fixed_size: 0
    .kernarg_segment_align: 8
    .kernarg_segment_size: 88
    .language:       OpenCL C
    .language_version:
      - 2
      - 0
    .max_flat_workgroup_size: 231
    .name:           fft_rtc_fwd_len1078_factors_2_11_7_7_wgs_231_tpt_77_halfLds_sp_ip_CI_sbrr_dirReg
    .private_segment_fixed_size: 0
    .sgpr_count:     28
    .sgpr_spill_count: 0
    .symbol:         fft_rtc_fwd_len1078_factors_2_11_7_7_wgs_231_tpt_77_halfLds_sp_ip_CI_sbrr_dirReg.kd
    .uniform_work_group_size: 1
    .uses_dynamic_stack: false
    .vgpr_count:     80
    .vgpr_spill_count: 0
    .wavefront_size: 64
amdhsa.target:   amdgcn-amd-amdhsa--gfx906
amdhsa.version:
  - 1
  - 2
...

	.end_amdgpu_metadata
